;; amdgpu-corpus repo=ROCm/rocFFT kind=compiled arch=gfx1030 opt=O3
	.text
	.amdgcn_target "amdgcn-amd-amdhsa--gfx1030"
	.amdhsa_code_object_version 6
	.protected	bluestein_single_fwd_len2592_dim1_dp_op_CI_CI ; -- Begin function bluestein_single_fwd_len2592_dim1_dp_op_CI_CI
	.globl	bluestein_single_fwd_len2592_dim1_dp_op_CI_CI
	.p2align	8
	.type	bluestein_single_fwd_len2592_dim1_dp_op_CI_CI,@function
bluestein_single_fwd_len2592_dim1_dp_op_CI_CI: ; @bluestein_single_fwd_len2592_dim1_dp_op_CI_CI
; %bb.0:
	s_load_dwordx4 s[12:15], s[4:5], 0x28
	v_mul_u32_u24_e32 v1, 0x130, v0
	v_mov_b32_e32 v173, 0
	s_mov_b32 s0, exec_lo
	v_lshrrev_b32_e32 v1, 16, v1
	v_add_nc_u32_e32 v172, s6, v1
	s_waitcnt lgkmcnt(0)
	v_cmpx_gt_u64_e64 s[12:13], v[172:173]
	s_cbranch_execz .LBB0_2
; %bb.1:
	s_clause 0x1
	s_load_dwordx4 s[0:3], s[4:5], 0x18
	s_load_dwordx4 s[8:11], s[4:5], 0x0
	v_mul_lo_u16 v1, 0xd8, v1
	v_mov_b32_e32 v145, 4
	v_mov_b32_e32 v162, 36
	s_load_dwordx2 s[4:5], s[4:5], 0x38
	v_sub_nc_u16 v144, v0, v1
	v_and_b32_e32 v174, 0xffff, v144
	v_and_b32_e32 v151, 0xff, v144
	v_lshlrev_b32_e32 v173, 4, v174
	v_add_co_u32 v146, null, 0xd8, v174
	s_waitcnt lgkmcnt(0)
	s_load_dwordx4 s[16:19], s[0:1], 0x0
	v_add_co_u32 v175, s0, s8, v173
	v_add_co_ci_u32_e64 v176, null, s9, 0, s0
	global_load_dwordx4 v[0:3], v173, s[8:9]
	v_add_co_u32 v6, vcc_lo, 0x1800, v175
	v_add_co_ci_u32_e32 v7, vcc_lo, 0, v176, vcc_lo
	v_add_co_u32 v10, vcc_lo, 0x3000, v175
	v_add_co_ci_u32_e32 v11, vcc_lo, 0, v176, vcc_lo
	v_add_co_u32 v12, vcc_lo, 0x5000, v175
	v_add_co_ci_u32_e32 v13, vcc_lo, 0, v176, vcc_lo
	v_add_co_u32 v16, vcc_lo, 0x6800, v175
	s_waitcnt lgkmcnt(0)
	v_mad_u64_u32 v[4:5], null, s18, v172, 0
	v_mad_u64_u32 v[8:9], null, s16, v174, 0
	v_add_co_ci_u32_e32 v17, vcc_lo, 0, v176, vcc_lo
	s_mul_i32 s0, s17, 0x1b00
	s_mul_hi_u32 s1, s16, 0x1b00
	v_mad_u64_u32 v[14:15], null, s19, v172, v[5:6]
	v_mad_u64_u32 v[18:19], null, s17, v174, v[9:10]
	v_add_co_u32 v19, vcc_lo, 0x8000, v175
	v_add_co_ci_u32_e32 v20, vcc_lo, 0, v176, vcc_lo
	v_mov_b32_e32 v5, v14
	v_add_co_u32 v21, vcc_lo, 0x800, v175
	v_mov_b32_e32 v9, v18
	v_add_co_ci_u32_e32 v22, vcc_lo, 0, v176, vcc_lo
	v_lshlrev_b64 v[4:5], 4, v[4:5]
	v_add_co_u32 v36, vcc_lo, 0x2800, v175
	v_add_co_ci_u32_e32 v37, vcc_lo, 0, v176, vcc_lo
	v_lshlrev_b64 v[8:9], 4, v[8:9]
	v_add_co_u32 v4, vcc_lo, s14, v4
	v_add_co_ci_u32_e32 v5, vcc_lo, s15, v5, vcc_lo
	s_mul_i32 s6, s16, 0x1b00
	v_add_co_u32 v38, vcc_lo, v4, v8
	v_add_co_ci_u32_e32 v39, vcc_lo, v5, v9, vcc_lo
	s_add_i32 s1, s1, s0
	v_add_co_u32 v40, vcc_lo, v38, s6
	v_add_co_ci_u32_e32 v41, vcc_lo, s1, v39, vcc_lo
	v_add_co_u32 v42, vcc_lo, 0x4000, v175
	v_add_co_ci_u32_e32 v43, vcc_lo, 0, v176, vcc_lo
	;; [unrolled: 2-line block ×7, first 2 shown]
	s_mul_i32 s0, s17, 0xffff8680
	v_add_co_u32 v68, vcc_lo, v64, s6
	v_add_co_ci_u32_e32 v69, vcc_lo, s1, v65, vcc_lo
	s_sub_i32 s0, s0, s16
	s_clause 0x3
	global_load_dwordx4 v[4:7], v[6:7], off offset:768
	global_load_dwordx4 v[24:27], v[10:11], off offset:1536
	;; [unrolled: 1-line block ×4, first 2 shown]
	v_mad_u64_u32 v[72:73], null, 0xffff8680, s16, v[68:69]
	s_clause 0x3
	global_load_dwordx4 v[32:35], v[19:20], off offset:1792
	global_load_dwordx4 v[28:31], v[21:22], off offset:1408
	;; [unrolled: 1-line block ×4, first 2 shown]
	s_clause 0x4
	global_load_dwordx4 v[48:51], v[38:39], off
	global_load_dwordx4 v[52:55], v[40:41], off
	;; [unrolled: 1-line block ×5, first 2 shown]
	v_add_nc_u32_e32 v73, s0, v73
	v_add_co_u32 v36, vcc_lo, v72, s6
	s_mov_b32 s9, 0xbfebb67a
	v_add_co_ci_u32_e32 v37, vcc_lo, s1, v73, vcc_lo
	v_add_co_u32 v38, vcc_lo, v36, s6
	v_add_co_ci_u32_e32 v39, vcc_lo, s1, v37, vcc_lo
	v_add_co_u32 v40, vcc_lo, v38, s6
	v_add_co_ci_u32_e32 v41, vcc_lo, s1, v39, vcc_lo
	global_load_dwordx4 v[68:71], v[68:69], off
	global_load_dwordx4 v[72:75], v[72:73], off
	;; [unrolled: 1-line block ×5, first 2 shown]
	v_add_co_u32 v40, vcc_lo, v40, s6
	v_add_co_ci_u32_e32 v41, vcc_lo, s1, v41, vcc_lo
	v_add_co_u32 v44, vcc_lo, 0x9000, v175
	v_add_co_ci_u32_e32 v45, vcc_lo, 0, v176, vcc_lo
	;; [unrolled: 2-line block ×3, first 2 shown]
	global_load_dwordx4 v[36:39], v[46:47], off offset:1664
	global_load_dwordx4 v[88:91], v[40:41], off
	s_clause 0x1
	global_load_dwordx4 v[40:43], v[92:93], off offset:384
	global_load_dwordx4 v[44:47], v[44:45], off offset:1152
	global_load_dwordx4 v[92:95], v[94:95], off
	s_load_dwordx4 s[0:3], s[2:3], 0x0
	s_mov_b32 s6, 0xe8584caa
	s_mov_b32 s7, 0x3febb67a
	;; [unrolled: 1-line block ×3, first 2 shown]
	s_waitcnt vmcnt(14)
	v_mul_f64 v[96:97], v[50:51], v[2:3]
	v_mul_f64 v[98:99], v[48:49], v[2:3]
	s_waitcnt vmcnt(13)
	v_mul_f64 v[100:101], v[54:55], v[6:7]
	v_mul_f64 v[102:103], v[52:53], v[6:7]
	;; [unrolled: 3-line block ×6, first 2 shown]
	s_waitcnt vmcnt(7)
	v_mul_f64 v[120:121], v[78:79], v[18:19]
	v_fma_f64 v[48:49], v[48:49], v[0:1], v[96:97]
	v_fma_f64 v[50:51], v[50:51], v[0:1], -v[98:99]
	v_mul_f64 v[96:97], v[70:71], v[34:35]
	v_mul_f64 v[98:99], v[68:69], v[34:35]
	;; [unrolled: 1-line block ×3, first 2 shown]
	s_waitcnt vmcnt(6)
	v_mul_f64 v[124:125], v[82:83], v[22:23]
	v_mul_f64 v[126:127], v[80:81], v[22:23]
	v_fma_f64 v[52:53], v[52:53], v[4:5], v[100:101]
	v_fma_f64 v[54:55], v[54:55], v[4:5], -v[102:103]
	s_waitcnt vmcnt(4)
	v_mul_f64 v[128:129], v[86:87], v[38:39]
	v_mul_f64 v[130:131], v[84:85], v[38:39]
	s_waitcnt vmcnt(2)
	v_mul_f64 v[132:133], v[90:91], v[42:43]
	v_mul_f64 v[134:135], v[88:89], v[42:43]
	s_waitcnt vmcnt(0)
	v_mul_f64 v[136:137], v[94:95], v[46:47]
	v_mul_f64 v[138:139], v[92:93], v[46:47]
	v_fma_f64 v[56:57], v[56:57], v[24:25], v[104:105]
	v_fma_f64 v[58:59], v[58:59], v[24:25], -v[106:107]
	v_fma_f64 v[60:61], v[60:61], v[12:13], v[108:109]
	v_fma_f64 v[62:63], v[62:63], v[12:13], -v[110:111]
	;; [unrolled: 2-line block ×4, first 2 shown]
	v_fma_f64 v[76:77], v[76:77], v[16:17], v[120:121]
	v_fma_f64 v[68:69], v[68:69], v[32:33], v[96:97]
	v_fma_f64 v[70:71], v[70:71], v[32:33], -v[98:99]
	v_fma_f64 v[78:79], v[78:79], v[16:17], -v[122:123]
	v_fma_f64 v[80:81], v[80:81], v[20:21], v[124:125]
	v_fma_f64 v[82:83], v[82:83], v[20:21], -v[126:127]
	v_mul_lo_u16 v112, 0xab, v151
	v_mul_lo_u16 v151, v151, 57
	v_fma_f64 v[84:85], v[84:85], v[36:37], v[128:129]
	v_fma_f64 v[86:87], v[86:87], v[36:37], -v[130:131]
	v_fma_f64 v[88:89], v[88:89], v[40:41], v[132:133]
	v_fma_f64 v[90:91], v[90:91], v[40:41], -v[134:135]
	;; [unrolled: 2-line block ×3, first 2 shown]
	ds_write_b128 v173, v[48:51]
	ds_write_b128 v173, v[52:55] offset:6912
	ds_write_b128 v173, v[56:59] offset:13824
	;; [unrolled: 1-line block ×11, first 2 shown]
	s_waitcnt lgkmcnt(0)
	s_barrier
	buffer_gl0_inv
	ds_read_b128 v[48:51], v173 offset:34560
	ds_read_b128 v[52:55], v173 offset:20736
	ds_read_b128 v[60:63], v173 offset:24192
	ds_read_b128 v[56:59], v173 offset:38016
	ds_read_b128 v[64:67], v173 offset:6912
	ds_read_b128 v[68:71], v173 offset:10368
	v_mov_b32_e32 v88, 0xaaab
	ds_read_b128 v[72:75], v173
	ds_read_b128 v[76:79], v173 offset:27648
	ds_read_b128 v[80:83], v173 offset:13824
	v_lshrrev_b16 v148, 10, v112
	v_mul_lo_u16 v128, v144, 6
	v_mul_u32_u24_sdwa v113, v146, v88 dst_sel:DWORD dst_unused:UNUSED_PAD src0_sel:WORD_0 src1_sel:DWORD
	v_mul_u32_u24_e32 v129, 6, v146
	v_lshrrev_b16 v151, 11, v151
	v_mul_lo_u16 v130, v148, 6
	v_lshlrev_b32_sdwa v178, v145, v128 dst_sel:DWORD dst_unused:UNUSED_PAD src0_sel:DWORD src1_sel:WORD_0
	v_lshrrev_b32_e32 v147, 18, v113
	v_lshlrev_b32_e32 v177, 4, v129
	s_waitcnt lgkmcnt(7)
	v_add_f64 v[84:85], v[54:55], v[50:51]
	v_add_f64 v[86:87], v[52:53], v[48:49]
	s_waitcnt lgkmcnt(5)
	v_add_f64 v[92:93], v[62:63], v[58:59]
	v_add_f64 v[94:95], v[60:61], v[56:57]
	v_add_f64 v[96:97], v[54:55], -v[50:51]
	v_add_f64 v[98:99], v[52:53], -v[48:49]
	;; [unrolled: 1-line block ×4, first 2 shown]
	s_waitcnt lgkmcnt(0)
	v_add_f64 v[112:113], v[80:81], v[76:77]
	v_add_f64 v[116:117], v[82:83], v[78:79]
	v_add_f64 v[118:119], v[82:83], -v[78:79]
	v_add_f64 v[82:83], v[74:75], v[82:83]
	v_add_f64 v[114:115], v[72:73], v[80:81]
	;; [unrolled: 1-line block ×4, first 2 shown]
	v_add_f64 v[80:81], v[80:81], -v[76:77]
	v_add_f64 v[60:61], v[68:69], v[60:61]
	v_add_f64 v[62:63], v[70:71], v[62:63]
	v_mul_lo_u16 v131, v147, 6
	v_fma_f64 v[100:101], v[84:85], -0.5, v[66:67]
	v_fma_f64 v[102:103], v[86:87], -0.5, v[64:65]
	;; [unrolled: 1-line block ×4, first 2 shown]
	ds_read_b128 v[84:87], v173 offset:17280
	ds_read_b128 v[88:91], v173 offset:31104
	;; [unrolled: 1-line block ×3, first 2 shown]
	v_sub_nc_u16 v149, v146, v131
	s_waitcnt lgkmcnt(0)
	v_fma_f64 v[68:69], v[112:113], -0.5, v[72:73]
	v_fma_f64 v[72:73], v[116:117], -0.5, v[74:75]
	s_barrier
	v_add_f64 v[78:79], v[82:83], v[78:79]
	v_add_f64 v[76:77], v[114:115], v[76:77]
	v_add_f64 v[52:53], v[52:53], v[48:49]
	v_add_f64 v[54:55], v[54:55], v[50:51]
	buffer_gl0_inv
	v_add_f64 v[60:61], v[60:61], v[56:57]
	v_add_f64 v[62:63], v[62:63], v[58:59]
	v_fma_f64 v[120:121], v[98:99], s[8:9], v[100:101]
	v_fma_f64 v[122:123], v[96:97], s[8:9], v[102:103]
	;; [unrolled: 1-line block ×4, first 2 shown]
	v_add_f64 v[100:101], v[84:85], v[88:89]
	v_add_f64 v[102:103], v[86:87], v[90:91]
	v_fma_f64 v[124:125], v[106:107], s[8:9], v[108:109]
	v_fma_f64 v[126:127], v[104:105], s[8:9], v[110:111]
	;; [unrolled: 1-line block ×4, first 2 shown]
	v_add_f64 v[64:65], v[92:93], v[84:85]
	v_add_f64 v[66:67], v[94:95], v[86:87]
	v_add_f64 v[70:71], v[86:87], -v[90:91]
	v_add_f64 v[74:75], v[84:85], -v[88:89]
	v_fma_f64 v[114:115], v[80:81], s[8:9], v[72:73]
	v_fma_f64 v[80:81], v[80:81], s[6:7], v[72:73]
	v_add_f64 v[48:49], v[76:77], v[52:53]
	v_add_f64 v[50:51], v[78:79], v[54:55]
	v_add_f64 v[52:53], v[76:77], -v[52:53]
	v_add_f64 v[54:55], v[78:79], -v[54:55]
	v_mul_f64 v[84:85], v[120:121], s[6:7]
	v_mul_f64 v[86:87], v[122:123], -0.5
	v_mul_f64 v[108:109], v[96:97], s[8:9]
	v_mul_f64 v[110:111], v[98:99], -0.5
	v_fma_f64 v[92:93], v[100:101], -0.5, v[92:93]
	v_fma_f64 v[94:95], v[102:103], -0.5, v[94:95]
	v_mul_f64 v[82:83], v[124:125], s[6:7]
	v_mul_f64 v[100:101], v[126:127], -0.5
	v_mul_f64 v[102:103], v[104:105], s[8:9]
	v_mul_f64 v[112:113], v[106:107], -0.5
	v_add_f64 v[64:65], v[64:65], v[88:89]
	v_add_f64 v[66:67], v[66:67], v[90:91]
	v_fma_f64 v[88:89], v[118:119], s[6:7], v[68:69]
	v_fma_f64 v[90:91], v[118:119], s[8:9], v[68:69]
	v_fma_f64 v[72:73], v[96:97], 0.5, v[84:85]
	v_fma_f64 v[84:85], v[98:99], s[6:7], v[86:87]
	v_fma_f64 v[86:87], v[120:121], 0.5, v[108:109]
	v_fma_f64 v[96:97], v[122:123], s[8:9], v[110:111]
	v_fma_f64 v[98:99], v[70:71], s[6:7], v[92:93]
	;; [unrolled: 1-line block ×3, first 2 shown]
	v_fma_f64 v[104:105], v[104:105], 0.5, v[82:83]
	v_fma_f64 v[92:93], v[70:71], s[8:9], v[92:93]
	v_fma_f64 v[102:103], v[124:125], 0.5, v[102:103]
	v_fma_f64 v[94:95], v[74:75], s[6:7], v[94:95]
	v_fma_f64 v[100:101], v[106:107], s[6:7], v[100:101]
	;; [unrolled: 1-line block ×3, first 2 shown]
	v_add_f64 v[56:57], v[64:65], v[60:61]
	v_add_f64 v[58:59], v[66:67], v[62:63]
	v_add_f64 v[60:61], v[64:65], -v[60:61]
	v_add_f64 v[62:63], v[66:67], -v[62:63]
	v_sub_nc_u16 v110, v144, v130
	v_and_b32_e32 v150, 0xff, v110
	v_add_f64 v[64:65], v[88:89], v[72:73]
	v_add_f64 v[68:69], v[90:91], v[84:85]
	;; [unrolled: 1-line block ×4, first 2 shown]
	v_add_f64 v[72:73], v[88:89], -v[72:73]
	v_add_f64 v[74:75], v[114:115], -v[86:87]
	;; [unrolled: 1-line block ×4, first 2 shown]
	v_add_f64 v[80:81], v[98:99], v[104:105]
	v_add_f64 v[82:83], v[108:109], v[102:103]
	;; [unrolled: 1-line block ×4, first 2 shown]
	v_add_f64 v[88:89], v[98:99], -v[104:105]
	v_add_f64 v[90:91], v[108:109], -v[102:103]
	v_add_f64 v[92:93], v[92:93], -v[100:101]
	v_add_f64 v[94:95], v[94:95], -v[106:107]
	v_mad_u64_u32 v[100:101], null, 0x50, v150, s[10:11]
	v_mul_lo_u16 v96, 0x50, v149
	ds_write_b128 v178, v[48:51]
	ds_write_b128 v178, v[52:55] offset:48
	ds_write_b128 v178, v[64:67] offset:16
	;; [unrolled: 1-line block ×5, first 2 shown]
	ds_write_b128 v177, v[56:59]
	ds_write_b128 v177, v[80:83] offset:16
	ds_write_b128 v177, v[84:87] offset:32
	;; [unrolled: 1-line block ×5, first 2 shown]
	v_and_b32_e32 v102, 0xffff, v96
	s_waitcnt lgkmcnt(0)
	s_barrier
	buffer_gl0_inv
	s_clause 0x1
	global_load_dwordx4 v[92:95], v[100:101], off offset:32
	global_load_dwordx4 v[96:99], v[100:101], off offset:64
	v_add_co_u32 v52, s12, s10, v102
	v_add_co_ci_u32_e64 v53, null, s11, 0, s12
	s_clause 0x7
	global_load_dwordx4 v[64:67], v[52:53], off offset:32
	global_load_dwordx4 v[76:79], v[52:53], off offset:64
	global_load_dwordx4 v[60:63], v[100:101], off
	global_load_dwordx4 v[48:51], v[52:53], off
	global_load_dwordx4 v[72:75], v[100:101], off offset:16
	global_load_dwordx4 v[68:71], v[100:101], off offset:48
	;; [unrolled: 1-line block ×4, first 2 shown]
	ds_read_b128 v[104:107], v173 offset:20736
	ds_read_b128 v[108:111], v173 offset:34560
	;; [unrolled: 1-line block ×10, first 2 shown]
	s_waitcnt vmcnt(9) lgkmcnt(9)
	v_mul_f64 v[112:113], v[106:107], v[94:95]
	v_mul_f64 v[124:125], v[104:105], v[94:95]
	s_waitcnt vmcnt(8) lgkmcnt(8)
	v_mul_f64 v[126:127], v[108:109], v[98:99]
	v_mul_f64 v[128:129], v[110:111], v[98:99]
	;; [unrolled: 3-line block ×6, first 2 shown]
	v_fma_f64 v[118:119], v[104:105], v[92:93], -v[112:113]
	v_fma_f64 v[112:113], v[106:107], v[92:93], v[124:125]
	v_fma_f64 v[104:105], v[110:111], v[96:97], v[126:127]
	v_fma_f64 v[106:107], v[108:109], v[96:97], -v[128:129]
	v_fma_f64 v[114:115], v[114:115], v[64:65], -v[130:131]
	v_fma_f64 v[116:117], v[116:117], v[64:65], v[136:137]
	v_fma_f64 v[108:109], v[122:123], v[76:77], v[138:139]
	v_fma_f64 v[110:111], v[120:121], v[76:77], -v[140:141]
	s_waitcnt vmcnt(3) lgkmcnt(3)
	v_mul_f64 v[120:121], v[90:91], v[74:75]
	v_mul_f64 v[122:123], v[88:89], v[74:75]
	s_waitcnt vmcnt(2) lgkmcnt(1)
	v_mul_f64 v[124:125], v[102:103], v[70:71]
	v_mul_f64 v[126:127], v[100:101], v[70:71]
	s_waitcnt vmcnt(1)
	v_mul_f64 v[128:129], v[82:83], v[58:59]
	s_waitcnt vmcnt(0) lgkmcnt(0)
	v_mul_f64 v[138:139], v[86:87], v[54:55]
	v_fma_f64 v[132:133], v[132:133], v[60:61], -v[142:143]
	v_fma_f64 v[130:131], v[134:135], v[60:61], v[156:157]
	v_mul_f64 v[134:135], v[80:81], v[58:59]
	v_mul_f64 v[136:137], v[84:85], v[54:55]
	v_fma_f64 v[152:153], v[152:153], v[48:49], -v[158:159]
	v_fma_f64 v[154:155], v[154:155], v[48:49], v[160:161]
	v_mov_b32_e32 v160, 0xe38f
	v_add_f64 v[142:143], v[112:113], v[104:105]
	v_add_f64 v[140:141], v[118:119], v[106:107]
	v_add_f64 v[156:157], v[116:117], v[108:109]
	v_add_f64 v[158:159], v[114:115], v[110:111]
	v_fma_f64 v[120:121], v[88:89], v[72:73], -v[120:121]
	v_fma_f64 v[122:123], v[90:91], v[72:73], v[122:123]
	v_fma_f64 v[100:101], v[100:101], v[68:69], -v[124:125]
	v_fma_f64 v[102:103], v[102:103], v[68:69], v[126:127]
	v_fma_f64 v[124:125], v[80:81], v[56:57], -v[128:129]
	v_fma_f64 v[126:127], v[84:85], v[52:53], -v[138:139]
	v_add_f64 v[128:129], v[118:119], -v[106:107]
	v_add_f64 v[138:139], v[112:113], -v[104:105]
	v_fma_f64 v[134:135], v[82:83], v[56:57], v[134:135]
	v_fma_f64 v[86:87], v[86:87], v[52:53], v[136:137]
	v_mul_u32_u24_sdwa v80, v146, v160 dst_sel:DWORD dst_unused:UNUSED_PAD src0_sel:WORD_0 src1_sel:DWORD
	v_add_f64 v[136:137], v[114:115], -v[110:111]
	v_add_f64 v[160:161], v[116:117], -v[108:109]
	ds_read_b128 v[88:91], v173
	ds_read_b128 v[82:85], v173 offset:3456
	v_mul_lo_u16 v81, v151, 36
	v_fma_f64 v[142:143], v[142:143], -0.5, v[130:131]
	v_fma_f64 v[140:141], v[140:141], -0.5, v[132:133]
	v_add_f64 v[118:119], v[132:133], v[118:119]
	v_add_f64 v[112:113], v[130:131], v[112:113]
	v_fma_f64 v[156:157], v[156:157], -0.5, v[154:155]
	v_fma_f64 v[158:159], v[158:159], -0.5, v[152:153]
	v_sub_nc_u16 v81, v144, v81
	v_mul_u32_u24_sdwa v144, v148, v162 dst_sel:DWORD dst_unused:UNUSED_PAD src0_sel:WORD_0 src1_sel:DWORD
	v_add_f64 v[162:163], v[120:121], v[100:101]
	v_add_f64 v[164:165], v[122:123], v[102:103]
	;; [unrolled: 1-line block ×5, first 2 shown]
	v_lshrrev_b32_e32 v80, 21, v80
	v_and_b32_e32 v81, 0xff, v81
	v_add_f64 v[181:182], v[134:135], v[86:87]
	s_waitcnt lgkmcnt(0)
	v_add_f64 v[166:167], v[88:89], v[120:121]
	v_add_f64 v[132:133], v[90:91], v[122:123]
	;; [unrolled: 1-line block ×4, first 2 shown]
	v_add_f64 v[120:121], v[120:121], -v[100:101]
	v_fma_f64 v[168:169], v[128:129], s[8:9], v[142:143]
	v_fma_f64 v[170:171], v[138:139], s[6:7], v[140:141]
	;; [unrolled: 1-line block ×8, first 2 shown]
	v_add_f64 v[122:123], v[122:123], -v[102:103]
	v_fma_f64 v[88:89], v[162:163], -0.5, v[88:89]
	v_fma_f64 v[90:91], v[164:165], -0.5, v[90:91]
	v_add_f64 v[134:135], v[134:135], -v[86:87]
	v_add_f64 v[124:125], v[124:125], -v[126:127]
	v_fma_f64 v[82:83], v[179:180], -0.5, v[82:83]
	v_add_f64 v[106:107], v[118:119], v[106:107]
	v_fma_f64 v[84:85], v[181:182], -0.5, v[84:85]
	v_add_f64 v[104:105], v[112:113], v[104:105]
	v_add_f64 v[100:101], v[166:167], v[100:101]
	;; [unrolled: 1-line block ×6, first 2 shown]
	v_mul_f64 v[152:153], v[168:169], s[6:7]
	v_mul_f64 v[154:155], v[170:171], s[8:9]
	v_mul_f64 v[156:157], v[138:139], -0.5
	v_mul_f64 v[160:161], v[128:129], -0.5
	v_mul_f64 v[162:163], v[140:141], s[6:7]
	v_mul_f64 v[164:165], v[142:143], s[8:9]
	v_mul_f64 v[132:133], v[158:159], -0.5
	v_mul_f64 v[166:167], v[136:137], -0.5
	v_add_f64 v[108:109], v[116:117], v[108:109]
	v_fma_f64 v[114:115], v[122:123], s[6:7], v[88:89]
	v_fma_f64 v[116:117], v[120:121], s[8:9], v[90:91]
	;; [unrolled: 1-line block ×3, first 2 shown]
	v_mul_lo_u16 v148, v80, 36
	v_add_lshl_u32 v180, v144, v150, 4
	s_barrier
	buffer_gl0_inv
	v_add_f64 v[87:88], v[100:101], -v[106:107]
	v_fma_f64 v[126:127], v[170:171], 0.5, v[152:153]
	v_fma_f64 v[130:131], v[168:169], 0.5, v[154:155]
	v_fma_f64 v[152:153], v[120:121], s[6:7], v[90:91]
	v_fma_f64 v[120:121], v[128:129], s[6:7], v[156:157]
	;; [unrolled: 1-line block ×6, first 2 shown]
	v_fma_f64 v[134:135], v[142:143], 0.5, v[162:163]
	v_fma_f64 v[140:141], v[140:141], 0.5, v[164:165]
	v_fma_f64 v[142:143], v[124:125], s[6:7], v[84:85]
	v_fma_f64 v[136:137], v[136:137], s[6:7], v[132:133]
	;; [unrolled: 1-line block ×3, first 2 shown]
	v_add_f64 v[83:84], v[100:101], v[106:107]
	v_add_f64 v[85:86], v[102:103], v[104:105]
	v_add_f64 v[89:90], v[102:103], -v[104:105]
	v_add_f64 v[100:101], v[112:113], v[110:111]
	v_add_f64 v[102:103], v[118:119], v[108:109]
	v_add_f64 v[104:105], v[112:113], -v[110:111]
	v_add_f64 v[106:107], v[118:119], -v[108:109]
	v_sub_nc_u16 v82, v146, v148
	v_mad_u16 v91, v147, 36, v149
	v_add_f64 v[108:109], v[114:115], v[126:127]
	v_add_f64 v[110:111], v[116:117], v[130:131]
	v_add_f64 v[112:113], v[114:115], -v[126:127]
	v_add_f64 v[114:115], v[116:117], -v[130:131]
	v_add_f64 v[116:117], v[122:123], v[120:121]
	v_add_f64 v[118:119], v[152:153], v[128:129]
	v_add_f64 v[120:121], v[122:123], -v[120:121]
	v_add_f64 v[122:123], v[152:153], -v[128:129]
	v_add_f64 v[124:125], v[154:155], v[134:135]
	v_add_f64 v[126:127], v[156:157], v[140:141]
	v_add_f64 v[128:129], v[154:155], -v[134:135]
	v_add_f64 v[132:133], v[138:139], v[136:137]
	v_add_f64 v[134:135], v[142:143], v[158:159]
	v_add_f64 v[130:131], v[156:157], -v[140:141]
	v_add_f64 v[136:137], v[138:139], -v[136:137]
	;; [unrolled: 1-line block ×3, first 2 shown]
	v_mul_lo_u16 v142, 0x50, v82
	v_mad_u64_u32 v[140:141], null, 0x50, v81, s[10:11]
	v_lshlrev_b32_sdwa v179, v145, v91 dst_sel:DWORD dst_unused:UNUSED_PAD src0_sel:DWORD src1_sel:WORD_0
	ds_write_b128 v180, v[83:86]
	ds_write_b128 v180, v[87:90] offset:288
	ds_write_b128 v180, v[108:111] offset:96
	;; [unrolled: 1-line block ×5, first 2 shown]
	ds_write_b128 v179, v[100:103]
	ds_write_b128 v179, v[124:127] offset:96
	ds_write_b128 v179, v[132:135] offset:192
	;; [unrolled: 1-line block ×5, first 2 shown]
	v_and_b32_e32 v91, 0xffff, v142
	s_waitcnt lgkmcnt(0)
	s_barrier
	buffer_gl0_inv
	global_load_dwordx4 v[112:115], v[140:141], off offset:512
	v_add_co_u32 v83, s12, s10, v91
	v_add_co_ci_u32_e64 v84, null, s11, 0, s12
	s_clause 0x8
	global_load_dwordx4 v[116:119], v[140:141], off offset:544
	global_load_dwordx4 v[132:135], v[83:84], off offset:512
	global_load_dwordx4 v[136:139], v[83:84], off offset:544
	global_load_dwordx4 v[120:123], v[140:141], off offset:480
	global_load_dwordx4 v[100:103], v[83:84], off offset:480
	global_load_dwordx4 v[128:131], v[140:141], off offset:496
	global_load_dwordx4 v[124:127], v[140:141], off offset:528
	global_load_dwordx4 v[108:111], v[83:84], off offset:496
	global_load_dwordx4 v[104:107], v[83:84], off offset:528
	ds_read_b128 v[83:86], v173 offset:20736
	ds_read_b128 v[87:90], v173 offset:34560
	;; [unrolled: 1-line block ×10, first 2 shown]
	v_mov_b32_e32 v91, 0xd8
	v_mad_u16 v80, 0xd8, v80, v82
	v_mul_u32_u24_sdwa v91, v151, v91 dst_sel:DWORD dst_unused:UNUSED_PAD src0_sel:WORD_0 src1_sel:DWORD
	s_waitcnt vmcnt(8) lgkmcnt(8)
	v_mul_f64 v[189:190], v[87:88], v[118:119]
	v_mul_f64 v[185:186], v[85:86], v[114:115]
	;; [unrolled: 1-line block ×4, first 2 shown]
	s_waitcnt vmcnt(7) lgkmcnt(7)
	v_mul_f64 v[193:194], v[142:143], v[134:135]
	v_mul_f64 v[195:196], v[140:141], v[134:135]
	s_waitcnt vmcnt(6) lgkmcnt(6)
	v_mul_f64 v[197:198], v[146:147], v[138:139]
	v_mul_f64 v[199:200], v[148:149], v[138:139]
	;; [unrolled: 3-line block ×4, first 2 shown]
	v_fma_f64 v[189:190], v[89:90], v[116:117], v[189:190]
	v_fma_f64 v[185:186], v[83:84], v[112:113], -v[185:186]
	v_fma_f64 v[187:188], v[85:86], v[112:113], v[187:188]
	v_fma_f64 v[191:192], v[87:88], v[116:117], -v[191:192]
	v_mul_f64 v[83:84], v[158:159], v[102:103]
	v_mul_f64 v[85:86], v[156:157], v[102:103]
	v_fma_f64 v[193:194], v[140:141], v[132:133], -v[193:194]
	v_fma_f64 v[142:143], v[142:143], v[132:133], v[195:196]
	v_fma_f64 v[148:149], v[148:149], v[136:137], v[197:198]
	v_fma_f64 v[146:147], v[146:147], v[136:137], -v[199:200]
	v_mul_f64 v[87:88], v[162:163], v[130:131]
	v_mul_f64 v[89:90], v[160:161], v[130:131]
	;; [unrolled: 1-line block ×6, first 2 shown]
	v_fma_f64 v[152:153], v[152:153], v[120:121], -v[201:202]
	v_fma_f64 v[154:155], v[154:155], v[120:121], v[203:204]
	v_fma_f64 v[181:182], v[181:182], v[104:105], -v[205:206]
	v_fma_f64 v[183:184], v[183:184], v[104:105], v[207:208]
	v_add_f64 v[201:202], v[187:188], v[189:190]
	v_add_f64 v[203:204], v[185:186], v[191:192]
	v_fma_f64 v[156:157], v[156:157], v[100:101], -v[83:84]
	v_fma_f64 v[158:159], v[158:159], v[100:101], v[85:86]
	ds_read_b128 v[83:86], v173
	v_add_f64 v[209:210], v[142:143], v[148:149]
	v_add_f64 v[211:212], v[193:194], v[146:147]
	v_fma_f64 v[160:161], v[160:161], v[128:129], -v[87:88]
	v_fma_f64 v[162:163], v[162:163], v[128:129], v[89:90]
	ds_read_b128 v[87:90], v173 offset:3456
	v_fma_f64 v[164:165], v[164:165], v[124:125], -v[140:141]
	v_fma_f64 v[166:167], v[166:167], v[124:125], v[195:196]
	v_fma_f64 v[168:169], v[168:169], v[108:109], -v[197:198]
	v_fma_f64 v[170:171], v[170:171], v[108:109], v[199:200]
	v_add_f64 v[195:196], v[185:186], -v[191:192]
	v_add_f64 v[197:198], v[187:188], -v[189:190]
	;; [unrolled: 1-line block ×3, first 2 shown]
	v_mad_u64_u32 v[140:141], null, 0x50, v174, s[10:11]
	s_waitcnt lgkmcnt(0)
	s_barrier
	v_fma_f64 v[199:200], v[201:202], -0.5, v[154:155]
	v_fma_f64 v[201:202], v[203:204], -0.5, v[152:153]
	v_add_f64 v[203:204], v[193:194], -v[146:147]
	v_add_f64 v[152:153], v[152:153], v[185:186]
	v_add_f64 v[154:155], v[154:155], v[187:188]
	;; [unrolled: 1-line block ×3, first 2 shown]
	v_fma_f64 v[207:208], v[209:210], -0.5, v[158:159]
	v_fma_f64 v[209:210], v[211:212], -0.5, v[156:157]
	v_add_f64 v[213:214], v[83:84], v[160:161]
	v_add_f64 v[215:216], v[85:86], v[162:163]
	;; [unrolled: 1-line block ×7, first 2 shown]
	v_add_f64 v[158:159], v[162:163], -v[166:167]
	v_add_f64 v[160:161], v[160:161], -v[164:165]
	v_add_f64 v[162:163], v[168:169], -v[181:182]
	buffer_gl0_inv
	v_fma_f64 v[221:222], v[195:196], s[8:9], v[199:200]
	v_fma_f64 v[223:224], v[197:198], s[6:7], v[201:202]
	;; [unrolled: 1-line block ×4, first 2 shown]
	v_add_f64 v[152:153], v[152:153], v[191:192]
	v_add_f64 v[154:155], v[154:155], v[189:190]
	v_fma_f64 v[195:196], v[203:204], s[8:9], v[207:208]
	v_fma_f64 v[197:198], v[205:206], s[6:7], v[209:210]
	;; [unrolled: 1-line block ×4, first 2 shown]
	v_add_f64 v[203:204], v[87:88], v[168:169]
	v_add_f64 v[205:206], v[89:90], v[170:171]
	v_fma_f64 v[83:84], v[150:151], -0.5, v[83:84]
	v_fma_f64 v[85:86], v[211:212], -0.5, v[85:86]
	v_add_f64 v[150:151], v[170:171], -v[183:184]
	v_fma_f64 v[87:88], v[217:218], -0.5, v[87:88]
	v_fma_f64 v[89:90], v[219:220], -0.5, v[89:90]
	v_add_f64 v[164:165], v[213:214], v[164:165]
	v_add_f64 v[166:167], v[215:216], v[166:167]
	;; [unrolled: 1-line block ×4, first 2 shown]
	v_mul_f64 v[168:169], v[221:222], s[6:7]
	v_mul_f64 v[170:171], v[223:224], s[8:9]
	v_mul_f64 v[193:194], v[185:186], -0.5
	v_mul_f64 v[207:208], v[187:188], -0.5
	v_mul_f64 v[209:210], v[195:196], s[6:7]
	v_mul_f64 v[211:212], v[197:198], s[8:9]
	v_mul_f64 v[213:214], v[199:200], -0.5
	v_mul_f64 v[215:216], v[201:202], -0.5
	v_add_f64 v[181:182], v[203:204], v[181:182]
	v_add_f64 v[183:184], v[205:206], v[183:184]
	v_fma_f64 v[189:190], v[158:159], s[6:7], v[83:84]
	v_fma_f64 v[191:192], v[160:161], s[8:9], v[85:86]
	;; [unrolled: 1-line block ×6, first 2 shown]
	v_add_f64 v[83:84], v[164:165], v[152:153]
	v_add_f64 v[85:86], v[166:167], v[154:155]
	v_fma_f64 v[158:159], v[223:224], 0.5, v[168:169]
	v_fma_f64 v[160:161], v[221:222], 0.5, v[170:171]
	v_fma_f64 v[168:169], v[187:188], s[6:7], v[193:194]
	v_fma_f64 v[185:186], v[185:186], s[8:9], v[207:208]
	;; [unrolled: 1-line block ×4, first 2 shown]
	v_fma_f64 v[187:188], v[197:198], 0.5, v[209:210]
	v_fma_f64 v[195:196], v[195:196], 0.5, v[211:212]
	v_fma_f64 v[197:198], v[201:202], s[6:7], v[213:214]
	v_fma_f64 v[199:200], v[199:200], s[8:9], v[215:216]
	v_add_f64 v[87:88], v[164:165], -v[152:153]
	v_add_f64 v[89:90], v[166:167], -v[154:155]
	v_add_f64 v[146:147], v[181:182], v[156:157]
	v_add_f64 v[150:151], v[181:182], -v[156:157]
	v_add_f64 v[148:149], v[183:184], v[142:143]
	v_add_f64 v[152:153], v[183:184], -v[142:143]
	v_add_co_u32 v201, vcc_lo, 0x800, v140
	v_add_co_ci_u32_e32 v202, vcc_lo, 0, v141, vcc_lo
	v_add_co_u32 v142, vcc_lo, 0xd20, v140
	v_add_f64 v[154:155], v[189:190], v[158:159]
	v_add_f64 v[156:157], v[191:192], v[160:161]
	;; [unrolled: 1-line block ×4, first 2 shown]
	v_add_f64 v[158:159], v[189:190], -v[158:159]
	v_add_f64 v[160:161], v[191:192], -v[160:161]
	;; [unrolled: 1-line block ×4, first 2 shown]
	v_add_f64 v[183:184], v[217:218], v[187:188]
	v_add_f64 v[185:186], v[219:220], v[195:196]
	;; [unrolled: 1-line block ×4, first 2 shown]
	v_add_f64 v[187:188], v[217:218], -v[187:188]
	v_add_f64 v[189:190], v[219:220], -v[195:196]
	;; [unrolled: 1-line block ×4, first 2 shown]
	v_add_co_ci_u32_e32 v143, vcc_lo, 0, v141, vcc_lo
	v_add_lshl_u32 v182, v91, v81, 4
	v_lshlrev_b32_sdwa v181, v145, v80 dst_sel:DWORD dst_unused:UNUSED_PAD src0_sel:DWORD src1_sel:WORD_0
	ds_write_b128 v182, v[83:86]
	ds_write_b128 v182, v[87:90] offset:1728
	ds_write_b128 v182, v[154:157] offset:576
	;; [unrolled: 1-line block ×5, first 2 shown]
	ds_write_b128 v181, v[146:149]
	ds_write_b128 v181, v[183:186] offset:576
	ds_write_b128 v181, v[191:194] offset:1152
	;; [unrolled: 1-line block ×5, first 2 shown]
	s_waitcnt lgkmcnt(0)
	s_barrier
	buffer_gl0_inv
	s_clause 0x4
	global_load_dwordx4 v[164:167], v[142:143], off offset:32
	global_load_dwordx4 v[168:171], v[201:202], off offset:1376
	;; [unrolled: 1-line block ×5, first 2 shown]
	ds_read_b128 v[142:145], v173 offset:20736
	ds_read_b128 v[146:149], v173 offset:34560
	;; [unrolled: 1-line block ×10, first 2 shown]
	s_waitcnt vmcnt(4) lgkmcnt(9)
	v_mul_f64 v[154:155], v[144:145], v[166:167]
	v_mul_f64 v[156:157], v[142:143], v[166:167]
	s_waitcnt vmcnt(3) lgkmcnt(8)
	v_mul_f64 v[162:163], v[146:147], v[170:171]
	v_mul_f64 v[207:208], v[148:149], v[170:171]
	s_waitcnt lgkmcnt(7)
	v_mul_f64 v[209:210], v[152:153], v[166:167]
	v_mul_f64 v[211:212], v[150:151], v[166:167]
	s_waitcnt lgkmcnt(6)
	v_mul_f64 v[213:214], v[158:159], v[170:171]
	v_mul_f64 v[215:216], v[160:161], v[170:171]
	s_waitcnt vmcnt(2) lgkmcnt(5)
	v_mul_f64 v[217:218], v[185:186], v[82:83]
	v_mul_f64 v[219:220], v[183:184], v[82:83]
	s_waitcnt lgkmcnt(4)
	v_mul_f64 v[221:222], v[189:190], v[82:83]
	s_waitcnt vmcnt(0) lgkmcnt(0)
	v_mul_f64 v[225:226], v[205:206], v[86:87]
	v_mul_f64 v[223:224], v[195:196], v[90:91]
	;; [unrolled: 1-line block ×3, first 2 shown]
	v_fma_f64 v[154:155], v[142:143], v[164:165], -v[154:155]
	v_fma_f64 v[156:157], v[144:145], v[164:165], v[156:157]
	v_fma_f64 v[142:143], v[148:149], v[168:169], v[162:163]
	v_fma_f64 v[146:147], v[146:147], v[168:169], -v[207:208]
	v_mul_f64 v[162:163], v[187:188], v[82:83]
	v_fma_f64 v[150:151], v[150:151], v[164:165], -v[209:210]
	v_fma_f64 v[152:153], v[152:153], v[164:165], v[211:212]
	v_fma_f64 v[144:145], v[160:161], v[168:169], v[213:214]
	v_fma_f64 v[148:149], v[158:159], v[168:169], -v[215:216]
	v_mul_f64 v[207:208], v[193:194], v[90:91]
	v_mul_f64 v[209:210], v[191:192], v[90:91]
	;; [unrolled: 1-line block ×4, first 2 shown]
	v_fma_f64 v[217:218], v[183:184], v[80:81], -v[217:218]
	v_fma_f64 v[219:220], v[185:186], v[80:81], v[219:220]
	v_mul_f64 v[215:216], v[197:198], v[90:91]
	v_fma_f64 v[187:188], v[187:188], v[80:81], -v[221:222]
	v_lshlrev_b32_e32 v158, 6, v174
	v_fma_f64 v[197:198], v[197:198], v[88:89], v[223:224]
	v_fma_f64 v[205:206], v[205:206], v[84:85], v[227:228]
	v_sub_co_u32 v245, vcc_lo, v140, v158
	v_add_f64 v[183:184], v[156:157], v[142:143]
	v_add_f64 v[185:186], v[154:155], v[146:147]
	v_fma_f64 v[162:163], v[189:190], v[80:81], v[162:163]
	v_subrev_co_ci_u32_e32 v246, vcc_lo, 0, v141, vcc_lo
	v_add_f64 v[189:190], v[152:153], v[144:145]
	v_add_f64 v[221:222], v[150:151], v[148:149]
	v_fma_f64 v[140:141], v[191:192], v[88:89], -v[207:208]
	v_fma_f64 v[191:192], v[193:194], v[88:89], v[209:210]
	v_fma_f64 v[193:194], v[199:200], v[84:85], -v[211:212]
	v_fma_f64 v[199:200], v[201:202], v[84:85], v[213:214]
	v_fma_f64 v[201:202], v[203:204], v[84:85], -v[225:226]
	v_add_f64 v[203:204], v[154:155], -v[146:147]
	v_add_f64 v[207:208], v[156:157], -v[142:143]
	v_fma_f64 v[195:196], v[195:196], v[88:89], -v[215:216]
	v_add_f64 v[213:214], v[150:151], -v[148:149]
	v_add_f64 v[215:216], v[152:153], -v[144:145]
	ds_read_b128 v[158:161], v173
	v_add_f64 v[154:155], v[217:218], v[154:155]
	v_add_f64 v[156:157], v[219:220], v[156:157]
	v_add_f64 v[150:151], v[187:188], v[150:151]
	v_add_co_u32 v223, vcc_lo, 0x5000, v245
	v_fma_f64 v[209:210], v[183:184], -0.5, v[219:220]
	v_fma_f64 v[211:212], v[185:186], -0.5, v[217:218]
	ds_read_b128 v[183:186], v173 offset:3456
	v_add_f64 v[152:153], v[162:163], v[152:153]
	v_fma_f64 v[189:190], v[189:190], -0.5, v[162:163]
	v_fma_f64 v[221:222], v[221:222], -0.5, v[187:188]
	v_add_co_ci_u32_e32 v224, vcc_lo, 0, v246, vcc_lo
	v_add_f64 v[229:230], v[140:141], v[193:194]
	v_add_f64 v[231:232], v[191:192], v[199:200]
	v_add_f64 v[162:163], v[191:192], -v[199:200]
	v_add_co_u32 v225, vcc_lo, 0x5800, v245
	v_add_co_ci_u32_e32 v226, vcc_lo, 0, v246, vcc_lo
	s_waitcnt lgkmcnt(1)
	v_add_f64 v[237:238], v[158:159], v[140:141]
	v_add_f64 v[239:240], v[160:161], v[191:192]
	v_add_f64 v[140:141], v[140:141], -v[193:194]
	v_add_f64 v[146:147], v[154:155], v[146:147]
	v_add_f64 v[154:155], v[156:157], v[142:143]
	v_add_co_u32 v227, vcc_lo, 0x6800, v245
	v_fma_f64 v[233:234], v[203:204], s[8:9], v[209:210]
	v_fma_f64 v[235:236], v[207:208], s[6:7], v[211:212]
	;; [unrolled: 1-line block ×4, first 2 shown]
	v_add_f64 v[209:210], v[195:196], v[201:202]
	v_add_f64 v[211:212], v[197:198], v[205:206]
	v_fma_f64 v[241:242], v[213:214], s[8:9], v[189:190]
	v_fma_f64 v[243:244], v[215:216], s[6:7], v[221:222]
	;; [unrolled: 1-line block ×4, first 2 shown]
	s_waitcnt lgkmcnt(0)
	v_add_f64 v[213:214], v[183:184], v[195:196]
	v_add_f64 v[217:218], v[185:186], v[197:198]
	v_fma_f64 v[158:159], v[229:230], -0.5, v[158:159]
	v_fma_f64 v[160:161], v[231:232], -0.5, v[160:161]
	v_add_f64 v[197:198], v[197:198], -v[205:206]
	v_add_f64 v[195:196], v[195:196], -v[201:202]
	v_add_f64 v[193:194], v[237:238], v[193:194]
	v_add_f64 v[199:200], v[239:240], v[199:200]
	v_add_co_ci_u32_e32 v228, vcc_lo, 0, v246, vcc_lo
	s_barrier
	v_mul_f64 v[187:188], v[233:234], s[6:7]
	v_mul_f64 v[191:192], v[235:236], s[8:9]
	v_mul_f64 v[219:220], v[207:208], -0.5
	v_mul_f64 v[221:222], v[203:204], -0.5
	v_fma_f64 v[183:184], v[209:210], -0.5, v[183:184]
	v_fma_f64 v[185:186], v[211:212], -0.5, v[185:186]
	v_mul_f64 v[209:210], v[241:242], s[6:7]
	v_mul_f64 v[211:212], v[243:244], s[8:9]
	v_mul_f64 v[229:230], v[215:216], -0.5
	v_mul_f64 v[231:232], v[189:190], -0.5
	v_add_f64 v[156:157], v[213:214], v[201:202]
	v_add_f64 v[201:202], v[217:218], v[205:206]
	;; [unrolled: 1-line block ×4, first 2 shown]
	v_fma_f64 v[217:218], v[162:163], s[6:7], v[158:159]
	v_fma_f64 v[237:238], v[140:141], s[8:9], v[160:161]
	v_add_f64 v[144:145], v[193:194], -v[146:147]
	v_add_f64 v[142:143], v[199:200], v[154:155]
	buffer_gl0_inv
	v_fma_f64 v[187:188], v[235:236], 0.5, v[187:188]
	v_fma_f64 v[191:192], v[233:234], 0.5, v[191:192]
	v_fma_f64 v[233:234], v[162:163], s[8:9], v[158:159]
	v_fma_f64 v[235:236], v[140:141], s[6:7], v[160:161]
	;; [unrolled: 1-line block ×6, first 2 shown]
	v_fma_f64 v[209:210], v[243:244], 0.5, v[209:210]
	v_fma_f64 v[211:212], v[241:242], 0.5, v[211:212]
	v_fma_f64 v[239:240], v[197:198], s[8:9], v[183:184]
	v_fma_f64 v[241:242], v[195:196], s[6:7], v[185:186]
	;; [unrolled: 1-line block ×4, first 2 shown]
	v_add_f64 v[140:141], v[193:194], v[146:147]
	v_add_f64 v[146:147], v[199:200], -v[154:155]
	v_add_f64 v[148:149], v[156:157], v[205:206]
	v_add_f64 v[150:151], v[201:202], v[213:214]
	v_add_f64 v[152:153], v[156:157], -v[205:206]
	v_add_f64 v[154:155], v[201:202], -v[213:214]
	v_add_f64 v[156:157], v[217:218], v[187:188]
	v_add_f64 v[158:159], v[237:238], v[191:192]
	v_add_f64 v[160:161], v[217:218], -v[187:188]
	;; [unrolled: 4-line block ×5, first 2 shown]
	v_add_f64 v[205:206], v[241:242], -v[215:216]
	v_add_co_u32 v207, vcc_lo, 0x7800, v245
	v_add_co_ci_u32_e32 v208, vcc_lo, 0, v246, vcc_lo
	v_add_co_u32 v209, vcc_lo, 0x8000, v245
	v_add_co_ci_u32_e32 v210, vcc_lo, 0, v246, vcc_lo
	ds_write_b128 v173, v[140:143]
	ds_write_b128 v173, v[144:147] offset:10368
	ds_write_b128 v173, v[148:151] offset:20736
	;; [unrolled: 1-line block ×11, first 2 shown]
	v_add_co_u32 v152, vcc_lo, 0x9000, v245
	s_waitcnt lgkmcnt(0)
	s_barrier
	buffer_gl0_inv
	s_clause 0x2
	global_load_dwordx4 v[148:151], v[223:224], off offset:160
	global_load_dwordx4 v[144:147], v[225:226], off offset:1568
	;; [unrolled: 1-line block ×3, first 2 shown]
	v_add_co_ci_u32_e32 v153, vcc_lo, 0, v246, vcc_lo
	s_clause 0x2
	global_load_dwordx4 v[160:163], v[207:208], off offset:288
	global_load_dwordx4 v[156:159], v[209:210], off offset:1696
	;; [unrolled: 1-line block ×3, first 2 shown]
	ds_read_b128 v[183:186], v173 offset:20736
	ds_read_b128 v[187:190], v173 offset:24192
	;; [unrolled: 1-line block ×6, first 2 shown]
	ds_read_b128 v[207:210], v173
	ds_read_b128 v[211:214], v173 offset:3456
	ds_read_b128 v[215:218], v173 offset:6912
	;; [unrolled: 1-line block ×3, first 2 shown]
	s_waitcnt vmcnt(5) lgkmcnt(9)
	v_mul_f64 v[223:224], v[185:186], v[150:151]
	v_mul_f64 v[225:226], v[183:184], v[150:151]
	s_waitcnt vmcnt(4) lgkmcnt(8)
	v_mul_f64 v[227:228], v[189:190], v[146:147]
	v_mul_f64 v[229:230], v[187:188], v[146:147]
	;; [unrolled: 3-line block ×6, first 2 shown]
	v_fma_f64 v[223:224], v[183:184], v[148:149], -v[223:224]
	v_fma_f64 v[225:226], v[185:186], v[148:149], v[225:226]
	v_fma_f64 v[227:228], v[187:188], v[144:145], -v[227:228]
	v_fma_f64 v[229:230], v[189:190], v[144:145], v[229:230]
	;; [unrolled: 2-line block ×6, first 2 shown]
	ds_read_b128 v[183:186], v173 offset:13824
	ds_read_b128 v[187:190], v173 offset:17280
	s_waitcnt lgkmcnt(5)
	v_add_f64 v[191:192], v[207:208], -v[223:224]
	v_add_f64 v[193:194], v[209:210], -v[225:226]
	s_waitcnt lgkmcnt(4)
	v_add_f64 v[195:196], v[211:212], -v[227:228]
	v_add_f64 v[197:198], v[213:214], -v[229:230]
	;; [unrolled: 3-line block ×4, first 2 shown]
	v_add_co_u32 v231, vcc_lo, 0xa000, v175
	s_waitcnt lgkmcnt(1)
	v_add_f64 v[223:224], v[183:184], -v[239:240]
	v_add_f64 v[225:226], v[185:186], -v[241:242]
	s_waitcnt lgkmcnt(0)
	v_add_f64 v[227:228], v[187:188], -v[243:244]
	v_add_f64 v[229:230], v[189:190], -v[245:246]
	v_add_co_ci_u32_e32 v232, vcc_lo, 0, v176, vcc_lo
	v_fma_f64 v[207:208], v[207:208], 2.0, -v[191:192]
	v_fma_f64 v[209:210], v[209:210], 2.0, -v[193:194]
	;; [unrolled: 1-line block ×12, first 2 shown]
	ds_write_b128 v173, v[191:194] offset:20736
	ds_write_b128 v173, v[195:198] offset:24192
	;; [unrolled: 1-line block ×6, first 2 shown]
	ds_write_b128 v173, v[207:210]
	ds_write_b128 v173, v[211:214] offset:3456
	ds_write_b128 v173, v[215:218] offset:6912
	;; [unrolled: 1-line block ×5, first 2 shown]
	s_waitcnt lgkmcnt(0)
	s_barrier
	buffer_gl0_inv
	global_load_dwordx4 v[183:186], v[231:232], off offset:512
	v_add_co_u32 v187, vcc_lo, 0xb800, v175
	v_add_co_ci_u32_e32 v188, vcc_lo, 0, v176, vcc_lo
	v_add_co_u32 v191, vcc_lo, 0xd800, v175
	v_add_co_ci_u32_e32 v192, vcc_lo, 0, v176, vcc_lo
	s_clause 0x1
	global_load_dwordx4 v[187:190], v[187:188], off offset:1280
	global_load_dwordx4 v[191:194], v[191:192], off
	v_add_co_u32 v195, vcc_lo, 0xf000, v175
	v_add_co_ci_u32_e32 v196, vcc_lo, 0, v176, vcc_lo
	v_add_co_u32 v199, vcc_lo, 0x10800, v175
	v_add_co_ci_u32_e32 v200, vcc_lo, 0, v176, vcc_lo
	global_load_dwordx4 v[195:198], v[195:196], off offset:768
	v_add_co_u32 v203, vcc_lo, 0x12800, v175
	global_load_dwordx4 v[199:202], v[199:200], off offset:1536
	v_add_co_ci_u32_e32 v204, vcc_lo, 0, v176, vcc_lo
	v_add_co_u32 v207, vcc_lo, 0xa800, v175
	v_add_co_ci_u32_e32 v208, vcc_lo, 0, v176, vcc_lo
	global_load_dwordx4 v[203:206], v[203:204], off offset:256
	v_add_co_u32 v211, vcc_lo, 0xc800, v175
	global_load_dwordx4 v[207:210], v[207:208], off offset:1920
	v_add_co_ci_u32_e32 v212, vcc_lo, 0, v176, vcc_lo
	global_load_dwordx4 v[211:214], v[211:212], off offset:640
	ds_read_b128 v[215:218], v173
	ds_read_b128 v[219:222], v173 offset:13824
	ds_read_b128 v[223:226], v173 offset:3456
	;; [unrolled: 1-line block ×5, first 2 shown]
	s_waitcnt vmcnt(7) lgkmcnt(5)
	v_mul_f64 v[239:240], v[217:218], v[185:186]
	v_mul_f64 v[185:186], v[215:216], v[185:186]
	s_waitcnt vmcnt(6) lgkmcnt(2)
	v_mul_f64 v[241:242], v[229:230], v[189:190]
	v_mul_f64 v[189:190], v[227:228], v[189:190]
	s_waitcnt vmcnt(5)
	v_mul_f64 v[243:244], v[221:222], v[193:194]
	v_mul_f64 v[193:194], v[219:220], v[193:194]
	v_fma_f64 v[215:216], v[215:216], v[183:184], -v[239:240]
	v_fma_f64 v[217:218], v[217:218], v[183:184], v[185:186]
	ds_read_b128 v[183:186], v173 offset:20736
	v_fma_f64 v[227:228], v[227:228], v[187:188], -v[241:242]
	v_fma_f64 v[229:230], v[229:230], v[187:188], v[189:190]
	ds_read_b128 v[187:190], v173 offset:24192
	;; [unrolled: 3-line block ×3, first 2 shown]
	ds_read_b128 v[239:242], v173 offset:31104
	s_waitcnt vmcnt(4) lgkmcnt(3)
	v_mul_f64 v[245:246], v[185:186], v[197:198]
	v_mul_f64 v[197:198], v[183:184], v[197:198]
	s_waitcnt vmcnt(3) lgkmcnt(1)
	v_mul_f64 v[243:244], v[193:194], v[201:202]
	v_mul_f64 v[201:202], v[191:192], v[201:202]
	v_fma_f64 v[183:184], v[183:184], v[195:196], -v[245:246]
	v_fma_f64 v[185:186], v[185:186], v[195:196], v[197:198]
	ds_read_b128 v[195:198], v173 offset:34560
	v_add_co_u32 v245, vcc_lo, 0xe000, v175
	v_add_co_ci_u32_e32 v246, vcc_lo, 0, v176, vcc_lo
	v_fma_f64 v[191:192], v[191:192], v[199:200], -v[243:244]
	v_fma_f64 v[193:194], v[193:194], v[199:200], v[201:202]
	ds_read_b128 v[199:202], v173 offset:38016
	s_waitcnt vmcnt(2) lgkmcnt(1)
	v_mul_f64 v[243:244], v[197:198], v[205:206]
	v_mul_f64 v[205:206], v[195:196], v[205:206]
	v_fma_f64 v[195:196], v[195:196], v[203:204], -v[243:244]
	v_fma_f64 v[197:198], v[197:198], v[203:204], v[205:206]
	s_waitcnt vmcnt(1)
	v_mul_f64 v[243:244], v[225:226], v[209:210]
	v_mul_f64 v[209:210], v[223:224], v[209:210]
	global_load_dwordx4 v[203:206], v[245:246], off offset:1408
	v_add_co_u32 v245, vcc_lo, 0x10000, v175
	v_add_co_ci_u32_e32 v246, vcc_lo, 0, v176, vcc_lo
	v_fma_f64 v[223:224], v[223:224], v[207:208], -v[243:244]
	v_fma_f64 v[225:226], v[225:226], v[207:208], v[209:210]
	s_waitcnt vmcnt(1)
	v_mul_f64 v[243:244], v[233:234], v[213:214]
	v_mul_f64 v[213:214], v[231:232], v[213:214]
	global_load_dwordx4 v[207:210], v[245:246], off offset:128
	v_add_co_u32 v245, vcc_lo, 0x11800, v175
	v_add_co_ci_u32_e32 v246, vcc_lo, 0, v176, vcc_lo
	v_add_co_u32 v175, vcc_lo, 0x13000, v175
	v_add_co_ci_u32_e32 v176, vcc_lo, 0, v176, vcc_lo
	v_fma_f64 v[231:232], v[231:232], v[211:212], -v[243:244]
	v_fma_f64 v[233:234], v[233:234], v[211:212], v[213:214]
	s_clause 0x1
	global_load_dwordx4 v[211:214], v[245:246], off offset:896
	global_load_dwordx4 v[243:246], v[175:176], off offset:1664
	s_waitcnt vmcnt(3)
	v_mul_f64 v[175:176], v[237:238], v[205:206]
	v_mul_f64 v[205:206], v[235:236], v[205:206]
	v_fma_f64 v[235:236], v[235:236], v[203:204], -v[175:176]
	v_fma_f64 v[237:238], v[237:238], v[203:204], v[205:206]
	s_waitcnt vmcnt(2)
	v_mul_f64 v[175:176], v[189:190], v[209:210]
	v_mul_f64 v[203:204], v[187:188], v[209:210]
	s_waitcnt vmcnt(1)
	v_mul_f64 v[205:206], v[241:242], v[213:214]
	v_mul_f64 v[209:210], v[239:240], v[213:214]
	v_fma_f64 v[187:188], v[187:188], v[207:208], -v[175:176]
	v_fma_f64 v[189:190], v[189:190], v[207:208], v[203:204]
	s_waitcnt vmcnt(0) lgkmcnt(0)
	v_mul_f64 v[175:176], v[201:202], v[245:246]
	v_mul_f64 v[207:208], v[199:200], v[245:246]
	v_fma_f64 v[203:204], v[239:240], v[211:212], -v[205:206]
	v_fma_f64 v[205:206], v[241:242], v[211:212], v[209:210]
	v_fma_f64 v[199:200], v[199:200], v[243:244], -v[175:176]
	v_fma_f64 v[201:202], v[201:202], v[243:244], v[207:208]
	ds_write_b128 v173, v[215:218]
	ds_write_b128 v173, v[227:230] offset:6912
	ds_write_b128 v173, v[219:222] offset:13824
	;; [unrolled: 1-line block ×11, first 2 shown]
	s_waitcnt lgkmcnt(0)
	s_barrier
	buffer_gl0_inv
	ds_read_b128 v[183:186], v173 offset:34560
	ds_read_b128 v[187:190], v173 offset:20736
	;; [unrolled: 1-line block ×6, first 2 shown]
	ds_read_b128 v[207:210], v173
	ds_read_b128 v[211:214], v173 offset:13824
	ds_read_b128 v[215:218], v173 offset:27648
	;; [unrolled: 1-line block ×4, first 2 shown]
	s_waitcnt lgkmcnt(9)
	v_add_f64 v[175:176], v[189:190], v[185:186]
	v_add_f64 v[231:232], v[187:188], v[183:184]
	s_waitcnt lgkmcnt(7)
	v_add_f64 v[227:228], v[193:194], v[197:198]
	v_add_f64 v[233:234], v[187:188], -v[183:184]
	v_add_f64 v[235:236], v[191:192], v[195:196]
	v_add_f64 v[237:238], v[191:192], -v[195:196]
	s_waitcnt lgkmcnt(3)
	v_add_f64 v[243:244], v[209:210], v[213:214]
	s_waitcnt lgkmcnt(2)
	v_add_f64 v[245:246], v[211:212], v[215:216]
	v_add_f64 v[187:188], v[199:200], v[187:188]
	;; [unrolled: 1-line block ×4, first 2 shown]
	s_waitcnt lgkmcnt(0)
	v_add_f64 v[249:250], v[219:220], v[223:224]
	v_add_f64 v[191:192], v[203:204], v[191:192]
	v_add_f64 v[213:214], v[213:214], -v[217:218]
	v_add_f64 v[211:212], v[211:212], -v[215:216]
	v_fma_f64 v[175:176], v[175:176], -0.5, v[201:202]
	v_add_f64 v[201:202], v[201:202], v[189:190]
	v_fma_f64 v[239:240], v[227:228], -0.5, v[205:206]
	v_add_f64 v[189:190], v[189:190], -v[185:186]
	v_fma_f64 v[199:200], v[231:232], -0.5, v[199:200]
	ds_read_b128 v[227:230], v173 offset:3456
	v_fma_f64 v[203:204], v[235:236], -0.5, v[203:204]
	v_add_f64 v[205:206], v[205:206], v[193:194]
	v_add_f64 v[193:194], v[193:194], -v[197:198]
	v_add_f64 v[217:218], v[243:244], v[217:218]
	v_fma_f64 v[207:208], v[245:246], -0.5, v[207:208]
	v_fma_f64 v[209:210], v[247:248], -0.5, v[209:210]
	v_add_f64 v[215:216], v[241:242], v[215:216]
	v_add_f64 v[187:188], v[187:188], v[183:184]
	;; [unrolled: 1-line block ×3, first 2 shown]
	s_waitcnt lgkmcnt(0)
	s_barrier
	buffer_gl0_inv
	v_fma_f64 v[231:232], v[233:234], s[6:7], v[175:176]
	v_fma_f64 v[175:176], v[233:234], s[8:9], v[175:176]
	v_add_f64 v[233:234], v[221:222], v[225:226]
	v_fma_f64 v[235:236], v[237:238], s[6:7], v[239:240]
	v_fma_f64 v[237:238], v[237:238], s[8:9], v[239:240]
	v_add_f64 v[239:240], v[227:228], v[219:220]
	v_fma_f64 v[243:244], v[189:190], s[8:9], v[199:200]
	v_add_f64 v[241:242], v[229:230], v[221:222]
	v_fma_f64 v[189:190], v[189:190], s[6:7], v[199:200]
	v_add_f64 v[221:222], v[221:222], -v[225:226]
	v_add_f64 v[219:220], v[219:220], -v[223:224]
	v_fma_f64 v[227:228], v[249:250], -0.5, v[227:228]
	v_add_f64 v[201:202], v[201:202], v[185:186]
	v_add_f64 v[197:198], v[205:206], v[197:198]
	v_fma_f64 v[205:206], v[213:214], s[8:9], v[207:208]
	v_fma_f64 v[213:214], v[213:214], s[6:7], v[207:208]
	v_add_f64 v[183:184], v[215:216], v[187:188]
	v_add_f64 v[187:188], v[215:216], -v[187:188]
	v_mul_f64 v[245:246], v[231:232], s[8:9]
	v_mul_f64 v[231:232], v[231:232], 0.5
	v_mul_f64 v[199:200], v[175:176], s[8:9]
	v_mul_f64 v[175:176], v[175:176], -0.5
	v_fma_f64 v[229:230], v[233:234], -0.5, v[229:230]
	v_fma_f64 v[233:234], v[193:194], s[8:9], v[203:204]
	v_mul_f64 v[247:248], v[235:236], s[8:9]
	v_mul_f64 v[235:236], v[235:236], 0.5
	v_fma_f64 v[193:194], v[193:194], s[6:7], v[203:204]
	v_mul_f64 v[203:204], v[237:238], s[8:9]
	v_mul_f64 v[237:238], v[237:238], -0.5
	v_add_f64 v[223:224], v[239:240], v[223:224]
	v_fma_f64 v[239:240], v[211:212], s[6:7], v[209:210]
	v_add_f64 v[225:226], v[241:242], v[225:226]
	v_fma_f64 v[241:242], v[211:212], s[8:9], v[209:210]
	v_add_f64 v[185:186], v[217:218], v[201:202]
	v_fma_f64 v[207:208], v[243:244], 0.5, v[245:246]
	v_fma_f64 v[231:232], v[243:244], s[6:7], v[231:232]
	v_fma_f64 v[211:212], v[189:190], -0.5, v[199:200]
	v_fma_f64 v[175:176], v[189:190], s[6:7], v[175:176]
	v_fma_f64 v[243:244], v[221:222], s[8:9], v[227:228]
	;; [unrolled: 1-line block ×4, first 2 shown]
	v_fma_f64 v[221:222], v[233:234], 0.5, v[247:248]
	v_fma_f64 v[233:234], v[233:234], s[6:7], v[235:236]
	v_fma_f64 v[229:230], v[219:220], s[8:9], v[229:230]
	v_fma_f64 v[235:236], v[193:194], -0.5, v[203:204]
	v_fma_f64 v[237:238], v[193:194], s[6:7], v[237:238]
	v_add_f64 v[189:190], v[217:218], -v[201:202]
	v_add_f64 v[191:192], v[223:224], v[195:196]
	v_add_f64 v[193:194], v[225:226], v[197:198]
	v_add_f64 v[195:196], v[223:224], -v[195:196]
	v_add_f64 v[197:198], v[225:226], -v[197:198]
	v_add_f64 v[199:200], v[205:206], v[207:208]
	v_add_f64 v[201:202], v[239:240], v[231:232]
	v_add_f64 v[203:204], v[205:206], -v[207:208]
	v_add_f64 v[207:208], v[213:214], v[211:212]
	v_add_f64 v[209:210], v[241:242], v[175:176]
	v_add_f64 v[205:206], v[239:240], -v[231:232]
	v_add_f64 v[211:212], v[213:214], -v[211:212]
	;; [unrolled: 1-line block ×3, first 2 shown]
	v_add_f64 v[215:216], v[243:244], v[221:222]
	v_add_f64 v[217:218], v[245:246], v[233:234]
	;; [unrolled: 1-line block ×4, first 2 shown]
	v_add_f64 v[219:220], v[243:244], -v[221:222]
	v_add_f64 v[221:222], v[245:246], -v[233:234]
	;; [unrolled: 1-line block ×4, first 2 shown]
	ds_write_b128 v178, v[183:186]
	ds_write_b128 v178, v[187:190] offset:48
	ds_write_b128 v178, v[199:202] offset:16
	;; [unrolled: 1-line block ×5, first 2 shown]
	ds_write_b128 v177, v[191:194]
	ds_write_b128 v177, v[215:218] offset:16
	ds_write_b128 v177, v[223:226] offset:32
	;; [unrolled: 1-line block ×5, first 2 shown]
	s_waitcnt lgkmcnt(0)
	s_barrier
	buffer_gl0_inv
	ds_read_b128 v[175:178], v173 offset:20736
	ds_read_b128 v[183:186], v173 offset:34560
	;; [unrolled: 1-line block ×9, first 2 shown]
	s_waitcnt lgkmcnt(8)
	v_mul_f64 v[215:216], v[94:95], v[175:176]
	s_waitcnt lgkmcnt(7)
	v_mul_f64 v[217:218], v[98:99], v[183:184]
	;; [unrolled: 2-line block ×5, first 2 shown]
	v_mul_f64 v[94:95], v[94:95], v[177:178]
	v_mul_f64 v[98:99], v[98:99], v[185:186]
	s_waitcnt lgkmcnt(3)
	v_mul_f64 v[225:226], v[50:51], v[199:200]
	v_mul_f64 v[66:67], v[66:67], v[189:190]
	v_mul_f64 v[78:79], v[78:79], v[193:194]
	v_mul_f64 v[62:63], v[62:63], v[197:198]
	s_waitcnt lgkmcnt(1)
	v_mul_f64 v[227:228], v[58:59], v[209:210]
	v_fma_f64 v[177:178], v[92:93], v[177:178], -v[215:216]
	v_fma_f64 v[185:186], v[96:97], v[185:186], -v[217:218]
	ds_read_b128 v[215:218], v173 offset:31104
	v_fma_f64 v[189:190], v[64:65], v[189:190], -v[219:220]
	v_fma_f64 v[193:194], v[76:77], v[193:194], -v[221:222]
	v_mul_f64 v[219:220], v[74:75], v[205:206]
	v_mul_f64 v[74:75], v[74:75], v[203:204]
	s_waitcnt lgkmcnt(1)
	v_mul_f64 v[221:222], v[70:71], v[213:214]
	v_mul_f64 v[70:71], v[70:71], v[211:212]
	v_fma_f64 v[92:93], v[92:93], v[175:176], v[94:95]
	v_fma_f64 v[94:95], v[96:97], v[183:184], v[98:99]
	v_fma_f64 v[96:97], v[60:61], v[197:198], -v[223:224]
	v_mul_f64 v[175:176], v[58:59], v[207:208]
	v_mul_f64 v[197:198], v[50:51], v[201:202]
	v_fma_f64 v[64:65], v[64:65], v[187:188], v[66:67]
	v_fma_f64 v[66:67], v[76:77], v[191:192], v[78:79]
	v_fma_f64 v[76:77], v[48:49], v[201:202], -v[225:226]
	v_fma_f64 v[62:63], v[60:61], v[195:196], v[62:63]
	ds_read_b128 v[58:61], v173
	s_waitcnt lgkmcnt(1)
	v_mul_f64 v[183:184], v[54:55], v[217:218]
	v_add_f64 v[98:99], v[177:178], v[185:186]
	v_mul_f64 v[54:55], v[54:55], v[215:216]
	v_add_f64 v[78:79], v[189:190], v[193:194]
	v_fma_f64 v[187:188], v[72:73], v[203:204], v[219:220]
	v_fma_f64 v[72:73], v[72:73], v[205:206], -v[74:75]
	v_fma_f64 v[74:75], v[68:69], v[211:212], v[221:222]
	v_fma_f64 v[68:69], v[68:69], v[213:214], -v[70:71]
	v_fma_f64 v[70:71], v[56:57], v[207:208], v[227:228]
	v_add_f64 v[191:192], v[92:93], v[94:95]
	v_add_f64 v[195:196], v[92:93], -v[94:95]
	v_fma_f64 v[56:57], v[56:57], v[209:210], -v[175:176]
	v_fma_f64 v[48:49], v[48:49], v[199:200], v[197:198]
	v_add_f64 v[207:208], v[177:178], -v[185:186]
	v_add_f64 v[197:198], v[64:65], -v[66:67]
	;; [unrolled: 1-line block ×3, first 2 shown]
	v_add_f64 v[92:93], v[62:63], v[92:93]
	v_fma_f64 v[175:176], v[52:53], v[215:216], v[183:184]
	v_fma_f64 v[98:99], v[98:99], -0.5, v[96:97]
	v_fma_f64 v[54:55], v[52:53], v[217:218], -v[54:55]
	ds_read_b128 v[50:53], v173 offset:3456
	v_add_f64 v[183:184], v[64:65], v[66:67]
	v_fma_f64 v[78:79], v[78:79], -0.5, v[76:77]
	v_add_f64 v[96:97], v[96:97], v[177:178]
	v_add_f64 v[199:200], v[187:188], v[74:75]
	;; [unrolled: 1-line block ×3, first 2 shown]
	s_waitcnt lgkmcnt(1)
	v_add_f64 v[203:204], v[58:59], v[187:188]
	v_fma_f64 v[62:63], v[191:192], -0.5, v[62:63]
	v_add_f64 v[205:206], v[60:61], v[72:73]
	v_add_f64 v[76:77], v[76:77], v[189:190]
	v_add_f64 v[72:73], v[72:73], -v[68:69]
	s_waitcnt lgkmcnt(0)
	s_barrier
	buffer_gl0_inv
	v_add_f64 v[92:93], v[92:93], v[94:95]
	v_add_f64 v[177:178], v[70:71], v[175:176]
	v_fma_f64 v[191:192], v[195:196], s[6:7], v[98:99]
	v_fma_f64 v[98:99], v[195:196], s[8:9], v[98:99]
	v_add_f64 v[209:210], v[56:57], v[54:55]
	v_fma_f64 v[183:184], v[183:184], -0.5, v[48:49]
	v_fma_f64 v[213:214], v[197:198], s[6:7], v[78:79]
	v_add_f64 v[48:49], v[48:49], v[64:65]
	v_fma_f64 v[64:65], v[197:198], s[8:9], v[78:79]
	v_add_f64 v[195:196], v[50:51], v[70:71]
	v_add_f64 v[78:79], v[187:188], -v[74:75]
	v_fma_f64 v[58:59], v[199:200], -0.5, v[58:59]
	v_fma_f64 v[60:61], v[201:202], -0.5, v[60:61]
	v_fma_f64 v[187:188], v[207:208], s[8:9], v[62:63]
	v_fma_f64 v[62:63], v[207:208], s[6:7], v[62:63]
	v_add_f64 v[215:216], v[52:53], v[56:57]
	v_add_f64 v[56:57], v[56:57], -v[54:55]
	v_add_f64 v[70:71], v[70:71], -v[175:176]
	v_add_f64 v[74:75], v[203:204], v[74:75]
	v_add_f64 v[68:69], v[205:206], v[68:69]
	;; [unrolled: 1-line block ×4, first 2 shown]
	v_fma_f64 v[50:51], v[177:178], -0.5, v[50:51]
	v_mul_f64 v[189:190], v[191:192], s[8:9]
	v_mul_f64 v[191:192], v[191:192], 0.5
	v_mul_f64 v[177:178], v[98:99], s[8:9]
	v_mul_f64 v[98:99], v[98:99], -0.5
	v_fma_f64 v[52:53], v[209:210], -0.5, v[52:53]
	v_fma_f64 v[197:198], v[211:212], s[8:9], v[183:184]
	v_mul_f64 v[199:200], v[213:214], s[8:9]
	v_mul_f64 v[201:202], v[213:214], 0.5
	v_fma_f64 v[183:184], v[211:212], s[6:7], v[183:184]
	v_mul_f64 v[203:204], v[64:65], s[8:9]
	v_mul_f64 v[64:65], v[64:65], -0.5
	v_add_f64 v[96:97], v[195:196], v[175:176]
	v_add_f64 v[66:67], v[48:49], v[66:67]
	v_fma_f64 v[185:186], v[72:73], s[8:9], v[58:59]
	v_fma_f64 v[193:194], v[78:79], s[6:7], v[60:61]
	;; [unrolled: 1-line block ×4, first 2 shown]
	v_add_f64 v[175:176], v[215:216], v[54:55]
	v_add_f64 v[48:49], v[74:75], v[92:93]
	v_add_f64 v[54:55], v[68:69], -v[94:95]
	v_fma_f64 v[205:206], v[56:57], s[6:7], v[50:51]
	v_fma_f64 v[72:73], v[187:188], 0.5, v[189:190]
	v_fma_f64 v[187:188], v[187:188], s[6:7], v[191:192]
	v_fma_f64 v[177:178], v[62:63], -0.5, v[177:178]
	v_fma_f64 v[98:99], v[62:63], s[6:7], v[98:99]
	v_fma_f64 v[189:190], v[56:57], s[8:9], v[50:51]
	;; [unrolled: 1-line block ×3, first 2 shown]
	v_fma_f64 v[199:200], v[197:198], 0.5, v[199:200]
	v_fma_f64 v[197:198], v[197:198], s[6:7], v[201:202]
	v_fma_f64 v[201:202], v[70:71], s[8:9], v[52:53]
	v_fma_f64 v[203:204], v[183:184], -0.5, v[203:204]
	v_fma_f64 v[207:208], v[183:184], s[6:7], v[64:65]
	v_add_f64 v[50:51], v[68:69], v[94:95]
	v_add_f64 v[52:53], v[74:75], -v[92:93]
	v_add_f64 v[56:57], v[96:97], v[66:67]
	v_add_f64 v[60:61], v[96:97], -v[66:67]
	;; [unrolled: 2-line block ×3, first 2 shown]
	v_add_f64 v[64:65], v[185:186], v[72:73]
	v_add_f64 v[66:67], v[193:194], v[187:188]
	v_add_f64 v[68:69], v[185:186], -v[72:73]
	v_add_f64 v[72:73], v[195:196], v[177:178]
	v_add_f64 v[74:75], v[78:79], v[98:99]
	v_add_f64 v[70:71], v[193:194], -v[187:188]
	v_add_f64 v[76:77], v[195:196], -v[177:178]
	;; [unrolled: 1-line block ×3, first 2 shown]
	v_add_f64 v[92:93], v[189:190], v[199:200]
	v_add_f64 v[94:95], v[191:192], v[197:198]
	v_add_f64 v[175:176], v[205:206], v[203:204]
	v_add_f64 v[177:178], v[201:202], v[207:208]
	v_add_f64 v[96:97], v[189:190], -v[199:200]
	v_add_f64 v[98:99], v[191:192], -v[197:198]
	;; [unrolled: 1-line block ×4, first 2 shown]
	ds_write_b128 v180, v[48:51]
	ds_write_b128 v180, v[52:55] offset:288
	ds_write_b128 v180, v[64:67] offset:96
	;; [unrolled: 1-line block ×5, first 2 shown]
	ds_write_b128 v179, v[56:59]
	ds_write_b128 v179, v[92:95] offset:96
	ds_write_b128 v179, v[175:178] offset:192
	;; [unrolled: 1-line block ×5, first 2 shown]
	s_waitcnt lgkmcnt(0)
	s_barrier
	buffer_gl0_inv
	ds_read_b128 v[48:51], v173 offset:20736
	ds_read_b128 v[52:55], v173 offset:34560
	;; [unrolled: 1-line block ×9, first 2 shown]
	s_waitcnt lgkmcnt(8)
	v_mul_f64 v[96:97], v[114:115], v[48:49]
	s_waitcnt lgkmcnt(7)
	v_mul_f64 v[98:99], v[118:119], v[52:53]
	;; [unrolled: 2-line block ×4, first 2 shown]
	v_mul_f64 v[114:115], v[114:115], v[50:51]
	v_mul_f64 v[118:119], v[118:119], v[54:55]
	s_waitcnt lgkmcnt(4)
	v_mul_f64 v[179:180], v[122:123], v[64:65]
	v_mul_f64 v[122:123], v[122:123], v[66:67]
	v_fma_f64 v[183:184], v[112:113], v[50:51], -v[96:97]
	v_fma_f64 v[185:186], v[116:117], v[54:55], -v[98:99]
	v_mul_f64 v[50:51], v[134:135], v[58:59]
	s_waitcnt lgkmcnt(3)
	v_mul_f64 v[54:55], v[102:103], v[68:69]
	v_mul_f64 v[134:135], v[138:139], v[62:63]
	v_fma_f64 v[58:59], v[132:133], v[58:59], -v[175:176]
	v_fma_f64 v[62:63], v[136:137], v[62:63], -v[177:178]
	ds_read_b128 v[96:99], v173 offset:31104
	s_waitcnt lgkmcnt(3)
	v_mul_f64 v[138:139], v[130:131], v[74:75]
	v_mul_f64 v[130:131], v[130:131], v[72:73]
	s_waitcnt lgkmcnt(2)
	v_mul_f64 v[175:176], v[126:127], v[78:79]
	v_mul_f64 v[126:127], v[126:127], v[76:77]
	v_fma_f64 v[112:113], v[112:113], v[48:49], v[114:115]
	v_fma_f64 v[114:115], v[116:117], v[52:53], v[118:119]
	v_fma_f64 v[66:67], v[120:121], v[66:67], -v[179:180]
	s_waitcnt lgkmcnt(1)
	v_mul_f64 v[177:178], v[110:111], v[94:95]
	v_mul_f64 v[110:111], v[110:111], v[92:93]
	;; [unrolled: 1-line block ×3, first 2 shown]
	v_fma_f64 v[64:65], v[120:121], v[64:65], v[122:123]
	v_add_f64 v[52:53], v[183:184], v[185:186]
	v_fma_f64 v[56:57], v[132:133], v[56:57], v[50:51]
	v_fma_f64 v[70:71], v[100:101], v[70:71], -v[54:55]
	v_fma_f64 v[60:61], v[136:137], v[60:61], v[134:135]
	s_waitcnt lgkmcnt(0)
	v_mul_f64 v[116:117], v[106:107], v[98:99]
	v_mul_f64 v[106:107], v[106:107], v[96:97]
	v_add_f64 v[54:55], v[58:59], v[62:63]
	v_fma_f64 v[72:73], v[128:129], v[72:73], v[138:139]
	v_fma_f64 v[74:75], v[128:129], v[74:75], -v[130:131]
	v_fma_f64 v[76:77], v[124:125], v[76:77], v[175:176]
	v_fma_f64 v[78:79], v[124:125], v[78:79], -v[126:127]
	ds_read_b128 v[48:51], v173
	v_add_f64 v[118:119], v[112:113], v[114:115]
	v_add_f64 v[120:121], v[112:113], -v[114:115]
	v_fma_f64 v[92:93], v[108:109], v[92:93], v[177:178]
	v_fma_f64 v[94:95], v[108:109], v[94:95], -v[110:111]
	v_fma_f64 v[68:69], v[100:101], v[68:69], v[102:103]
	v_add_f64 v[112:113], v[64:65], v[112:113]
	v_add_f64 v[124:125], v[183:184], -v[185:186]
	v_add_f64 v[128:129], v[58:59], -v[62:63]
	v_fma_f64 v[122:123], v[52:53], -0.5, v[66:67]
	v_add_f64 v[66:67], v[66:67], v[183:184]
	v_add_f64 v[58:59], v[70:71], v[58:59]
	;; [unrolled: 1-line block ×3, first 2 shown]
	v_fma_f64 v[96:97], v[104:105], v[96:97], v[116:117]
	v_fma_f64 v[98:99], v[104:105], v[98:99], -v[106:107]
	v_add_f64 v[102:103], v[56:57], -v[60:61]
	v_fma_f64 v[104:105], v[54:55], -0.5, v[70:71]
	ds_read_b128 v[52:55], v173 offset:3456
	v_add_f64 v[106:107], v[72:73], v[76:77]
	v_add_f64 v[108:109], v[74:75], v[78:79]
	s_waitcnt lgkmcnt(1)
	v_add_f64 v[110:111], v[48:49], v[72:73]
	v_fma_f64 v[64:65], v[118:119], -0.5, v[64:65]
	v_add_f64 v[116:117], v[50:51], v[74:75]
	v_add_f64 v[72:73], v[72:73], -v[76:77]
	v_add_f64 v[74:75], v[74:75], -v[78:79]
	v_add_f64 v[56:57], v[68:69], v[56:57]
	v_add_f64 v[112:113], v[112:113], v[114:115]
	s_waitcnt lgkmcnt(0)
	s_barrier
	buffer_gl0_inv
	v_fma_f64 v[118:119], v[120:121], s[6:7], v[122:123]
	v_fma_f64 v[120:121], v[120:121], s[8:9], v[122:123]
	v_add_f64 v[66:67], v[66:67], v[185:186]
	v_fma_f64 v[100:101], v[100:101], -0.5, v[68:69]
	v_add_f64 v[122:123], v[92:93], v[96:97]
	v_add_f64 v[126:127], v[94:95], v[98:99]
	v_add_f64 v[68:69], v[54:55], v[94:95]
	v_fma_f64 v[130:131], v[102:103], s[6:7], v[104:105]
	v_fma_f64 v[102:103], v[102:103], s[8:9], v[104:105]
	v_add_f64 v[104:105], v[52:53], v[92:93]
	v_add_f64 v[70:71], v[94:95], -v[98:99]
	v_fma_f64 v[48:49], v[106:107], -0.5, v[48:49]
	v_fma_f64 v[50:51], v[108:109], -0.5, v[50:51]
	v_add_f64 v[76:77], v[110:111], v[76:77]
	v_fma_f64 v[94:95], v[124:125], s[8:9], v[64:65]
	v_add_f64 v[78:79], v[116:117], v[78:79]
	v_fma_f64 v[64:65], v[124:125], s[6:7], v[64:65]
	v_add_f64 v[92:93], v[92:93], -v[96:97]
	v_add_f64 v[62:63], v[58:59], v[62:63]
	v_add_f64 v[60:61], v[56:57], v[60:61]
	v_mul_f64 v[106:107], v[118:119], s[8:9]
	v_mul_f64 v[110:111], v[118:119], 0.5
	v_mul_f64 v[108:109], v[120:121], s[8:9]
	v_mul_f64 v[116:117], v[120:121], -0.5
	v_fma_f64 v[52:53], v[122:123], -0.5, v[52:53]
	v_fma_f64 v[54:55], v[126:127], -0.5, v[54:55]
	v_fma_f64 v[118:119], v[128:129], s[8:9], v[100:101]
	v_mul_f64 v[120:121], v[130:131], s[8:9]
	v_mul_f64 v[124:125], v[130:131], 0.5
	v_fma_f64 v[100:101], v[128:129], s[6:7], v[100:101]
	v_mul_f64 v[122:123], v[102:103], s[8:9]
	v_mul_f64 v[102:103], v[102:103], -0.5
	v_add_f64 v[96:97], v[104:105], v[96:97]
	v_add_f64 v[68:69], v[68:69], v[98:99]
	v_fma_f64 v[98:99], v[74:75], s[8:9], v[48:49]
	v_fma_f64 v[104:105], v[72:73], s[6:7], v[50:51]
	;; [unrolled: 1-line block ×4, first 2 shown]
	v_add_f64 v[48:49], v[76:77], v[112:113]
	v_add_f64 v[50:51], v[78:79], v[66:67]
	v_fma_f64 v[72:73], v[94:95], 0.5, v[106:107]
	v_fma_f64 v[94:95], v[94:95], s[6:7], v[110:111]
	v_fma_f64 v[106:107], v[64:65], -0.5, v[108:109]
	v_fma_f64 v[108:109], v[64:65], s[6:7], v[116:117]
	v_fma_f64 v[110:111], v[70:71], s[8:9], v[52:53]
	;; [unrolled: 1-line block ×4, first 2 shown]
	v_fma_f64 v[120:121], v[118:119], 0.5, v[120:121]
	v_fma_f64 v[118:119], v[118:119], s[6:7], v[124:125]
	v_fma_f64 v[128:129], v[92:93], s[8:9], v[54:55]
	v_fma_f64 v[122:123], v[100:101], -0.5, v[122:123]
	v_fma_f64 v[124:125], v[100:101], s[6:7], v[102:103]
	v_add_f64 v[52:53], v[76:77], -v[112:113]
	v_add_f64 v[54:55], v[78:79], -v[66:67]
	v_add_f64 v[58:59], v[68:69], v[62:63]
	v_add_f64 v[62:63], v[68:69], -v[62:63]
	v_add_f64 v[56:57], v[96:97], v[60:61]
	;; [unrolled: 2-line block ×3, first 2 shown]
	v_add_f64 v[66:67], v[104:105], v[94:95]
	v_add_f64 v[68:69], v[74:75], v[106:107]
	;; [unrolled: 1-line block ×3, first 2 shown]
	v_add_f64 v[72:73], v[98:99], -v[72:73]
	v_add_f64 v[76:77], v[74:75], -v[106:107]
	;; [unrolled: 1-line block ×4, first 2 shown]
	v_add_f64 v[92:93], v[110:111], v[120:121]
	v_add_f64 v[94:95], v[126:127], v[118:119]
	;; [unrolled: 1-line block ×4, first 2 shown]
	v_add_f64 v[100:101], v[110:111], -v[120:121]
	v_add_f64 v[102:103], v[126:127], -v[118:119]
	;; [unrolled: 1-line block ×4, first 2 shown]
	ds_write_b128 v182, v[48:51]
	ds_write_b128 v182, v[52:55] offset:1728
	ds_write_b128 v182, v[64:67] offset:576
	;; [unrolled: 1-line block ×5, first 2 shown]
	ds_write_b128 v181, v[56:59]
	ds_write_b128 v181, v[92:95] offset:576
	ds_write_b128 v181, v[96:99] offset:1152
	;; [unrolled: 1-line block ×5, first 2 shown]
	s_waitcnt lgkmcnt(0)
	s_barrier
	buffer_gl0_inv
	ds_read_b128 v[64:67], v173 offset:20736
	ds_read_b128 v[72:75], v173 offset:34560
	;; [unrolled: 1-line block ×9, first 2 shown]
	s_waitcnt lgkmcnt(8)
	v_mul_f64 v[60:61], v[166:167], v[64:65]
	s_waitcnt lgkmcnt(7)
	v_mul_f64 v[62:63], v[170:171], v[72:73]
	;; [unrolled: 2-line block ×4, first 2 shown]
	v_mul_f64 v[92:93], v[166:167], v[66:67]
	s_waitcnt lgkmcnt(4)
	v_mul_f64 v[98:99], v[82:83], v[48:49]
	v_mul_f64 v[100:101], v[170:171], v[74:75]
	;; [unrolled: 1-line block ×3, first 2 shown]
	s_waitcnt lgkmcnt(3)
	v_mul_f64 v[122:123], v[82:83], v[52:53]
	s_waitcnt lgkmcnt(1)
	v_mul_f64 v[124:125], v[86:87], v[120:121]
	v_mul_f64 v[126:127], v[86:87], v[118:119]
	;; [unrolled: 1-line block ×3, first 2 shown]
	s_waitcnt lgkmcnt(0)
	v_mul_f64 v[94:95], v[90:91], v[58:59]
	v_fma_f64 v[76:77], v[164:165], v[66:67], -v[60:61]
	v_fma_f64 v[68:69], v[168:169], v[74:75], -v[62:63]
	v_mul_f64 v[66:67], v[166:167], v[106:107]
	v_fma_f64 v[74:75], v[164:165], v[106:107], -v[70:71]
	v_fma_f64 v[70:71], v[168:169], v[110:111], -v[78:79]
	ds_read_b128 v[60:63], v173 offset:31104
	v_mul_f64 v[106:107], v[90:91], v[116:117]
	v_mul_f64 v[110:111], v[90:91], v[114:115]
	v_fma_f64 v[92:93], v[164:165], v[64:65], v[92:93]
	v_fma_f64 v[72:73], v[168:169], v[72:73], v[100:101]
	v_fma_f64 v[50:51], v[80:81], v[50:51], -v[98:99]
	v_mul_f64 v[90:91], v[90:91], v[56:57]
	v_fma_f64 v[78:79], v[168:169], v[108:109], v[112:113]
	v_fma_f64 v[48:49], v[80:81], v[48:49], v[96:97]
	;; [unrolled: 1-line block ×3, first 2 shown]
	v_add_f64 v[102:103], v[76:77], v[68:69]
	s_waitcnt lgkmcnt(0)
	v_mul_f64 v[98:99], v[86:87], v[62:63]
	v_mul_f64 v[100:101], v[86:87], v[60:61]
	;; [unrolled: 1-line block ×3, first 2 shown]
	v_fma_f64 v[82:83], v[164:165], v[104:105], v[66:67]
	v_fma_f64 v[54:55], v[80:81], v[54:55], -v[122:123]
	v_add_f64 v[112:113], v[74:75], v[70:71]
	v_fma_f64 v[108:109], v[88:89], v[114:115], v[106:107]
	v_fma_f64 v[110:111], v[88:89], v[116:117], -v[110:111]
	v_fma_f64 v[106:107], v[84:85], v[118:119], v[124:125]
	v_fma_f64 v[104:105], v[84:85], v[120:121], -v[126:127]
	v_add_f64 v[96:97], v[92:93], v[72:73]
	v_add_f64 v[114:115], v[92:93], -v[72:73]
	ds_read_b128 v[64:67], v173
	v_fma_f64 v[88:89], v[88:89], v[58:59], -v[90:91]
	ds_read_b128 v[56:59], v173 offset:3456
	v_add_f64 v[118:119], v[76:77], -v[68:69]
	v_add_f64 v[122:123], v[74:75], -v[70:71]
	s_waitcnt lgkmcnt(0)
	s_barrier
	buffer_gl0_inv
	v_fma_f64 v[102:103], v[102:103], -0.5, v[50:51]
	v_add_f64 v[50:51], v[50:51], v[76:77]
	v_fma_f64 v[60:61], v[84:85], v[60:61], v[98:99]
	v_fma_f64 v[62:63], v[84:85], v[62:63], -v[100:101]
	v_fma_f64 v[52:53], v[80:81], v[52:53], v[86:87]
	v_add_f64 v[80:81], v[82:83], v[78:79]
	v_add_f64 v[84:85], v[82:83], -v[78:79]
	v_fma_f64 v[86:87], v[112:113], -0.5, v[54:55]
	v_add_f64 v[54:55], v[54:55], v[74:75]
	v_mad_u64_u32 v[98:99], null, s2, v172, 0
	v_add_f64 v[100:101], v[108:109], v[106:107]
	v_add_f64 v[90:91], v[64:65], v[108:109]
	v_add_f64 v[112:113], v[110:111], -v[104:105]
	v_add_f64 v[116:117], v[66:67], v[110:111]
	v_add_f64 v[110:111], v[110:111], v[104:105]
	v_fma_f64 v[96:97], v[96:97], -0.5, v[48:49]
	v_add_f64 v[48:49], v[48:49], v[92:93]
	v_add_f64 v[108:109], v[108:109], -v[106:107]
	s_mul_i32 s2, s0, 0x1b00
	v_fma_f64 v[120:121], v[114:115], s[6:7], v[102:103]
	v_fma_f64 v[102:103], v[114:115], s[8:9], v[102:103]
	v_add_f64 v[92:93], v[94:95], v[60:61]
	v_add_f64 v[114:115], v[88:89], v[62:63]
	v_add_f64 v[124:125], v[88:89], -v[62:63]
	v_fma_f64 v[80:81], v[80:81], -0.5, v[52:53]
	v_add_f64 v[88:89], v[58:59], v[88:89]
	v_fma_f64 v[76:77], v[84:85], s[6:7], v[86:87]
	v_fma_f64 v[84:85], v[84:85], s[8:9], v[86:87]
	v_add_f64 v[86:87], v[56:57], v[94:95]
	v_add_f64 v[52:53], v[52:53], v[82:83]
	v_fma_f64 v[64:65], v[100:101], -0.5, v[64:65]
	v_add_f64 v[74:75], v[90:91], v[106:107]
	v_add_f64 v[94:95], v[94:95], -v[60:61]
	v_add_f64 v[82:83], v[116:117], v[104:105]
	v_fma_f64 v[66:67], v[110:111], -0.5, v[66:67]
	v_fma_f64 v[90:91], v[118:119], s[8:9], v[96:97]
	v_fma_f64 v[96:97], v[118:119], s[6:7], v[96:97]
	v_add_f64 v[72:73], v[48:49], v[72:73]
	v_add_f64 v[68:69], v[50:51], v[68:69]
	;; [unrolled: 1-line block ×3, first 2 shown]
	v_mul_f64 v[100:101], v[120:121], s[8:9]
	v_mul_f64 v[106:107], v[120:121], 0.5
	v_mul_f64 v[104:105], v[102:103], s[8:9]
	v_mul_f64 v[102:103], v[102:103], -0.5
	v_fma_f64 v[56:57], v[92:93], -0.5, v[56:57]
	v_fma_f64 v[58:59], v[114:115], -0.5, v[58:59]
	v_fma_f64 v[92:93], v[122:123], s[8:9], v[80:81]
	v_mul_f64 v[110:111], v[76:77], s[8:9]
	v_mul_f64 v[76:77], v[76:77], 0.5
	v_fma_f64 v[80:81], v[122:123], s[6:7], v[80:81]
	v_mul_f64 v[114:115], v[84:85], s[8:9]
	v_mul_f64 v[84:85], v[84:85], -0.5
	v_add_f64 v[60:61], v[86:87], v[60:61]
	v_add_f64 v[62:63], v[88:89], v[62:63]
	;; [unrolled: 1-line block ×3, first 2 shown]
	v_fma_f64 v[86:87], v[112:113], s[8:9], v[64:65]
	v_fma_f64 v[88:89], v[112:113], s[6:7], v[64:65]
	;; [unrolled: 1-line block ×4, first 2 shown]
	v_add_f64 v[48:49], v[74:75], v[72:73]
	v_add_f64 v[50:51], v[82:83], v[68:69]
	v_add_f64 v[52:53], v[74:75], -v[72:73]
	v_fma_f64 v[100:101], v[90:91], 0.5, v[100:101]
	v_fma_f64 v[90:91], v[90:91], s[6:7], v[106:107]
	v_fma_f64 v[104:105], v[96:97], -0.5, v[104:105]
	v_fma_f64 v[96:97], v[96:97], s[6:7], v[102:103]
	v_fma_f64 v[102:103], v[124:125], s[8:9], v[56:57]
	;; [unrolled: 1-line block ×4, first 2 shown]
	v_fma_f64 v[110:111], v[92:93], 0.5, v[110:111]
	v_fma_f64 v[118:119], v[92:93], s[6:7], v[76:77]
	v_fma_f64 v[94:95], v[94:95], s[8:9], v[58:59]
	v_fma_f64 v[114:115], v[80:81], -0.5, v[114:115]
	v_fma_f64 v[120:121], v[80:81], s[6:7], v[84:85]
	v_add_f64 v[54:55], v[82:83], -v[68:69]
	v_add_f64 v[58:59], v[62:63], v[70:71]
	v_add_f64 v[56:57], v[60:61], v[78:79]
	v_add_f64 v[60:61], v[60:61], -v[78:79]
	v_add_f64 v[62:63], v[62:63], -v[70:71]
	v_mad_u64_u32 v[122:123], null, s0, v174, 0
	s_mul_hi_u32 s6, s0, 0x1b00
	v_add_f64 v[64:65], v[86:87], v[100:101]
	v_add_f64 v[66:67], v[112:113], v[90:91]
	;; [unrolled: 1-line block ×4, first 2 shown]
	v_add_f64 v[72:73], v[86:87], -v[100:101]
	v_add_f64 v[74:75], v[112:113], -v[90:91]
	;; [unrolled: 1-line block ×4, first 2 shown]
	v_add_f64 v[80:81], v[102:103], v[110:111]
	v_add_f64 v[82:83], v[116:117], v[118:119]
	;; [unrolled: 1-line block ×4, first 2 shown]
	v_add_f64 v[88:89], v[102:103], -v[110:111]
	v_add_f64 v[90:91], v[116:117], -v[118:119]
	;; [unrolled: 1-line block ×4, first 2 shown]
	ds_write_b128 v173, v[48:51]
	ds_write_b128 v173, v[52:55] offset:10368
	ds_write_b128 v173, v[56:59] offset:20736
	;; [unrolled: 1-line block ×11, first 2 shown]
	s_waitcnt lgkmcnt(0)
	s_barrier
	buffer_gl0_inv
	ds_read_b128 v[52:55], v173 offset:20736
	ds_read_b128 v[56:59], v173 offset:24192
	;; [unrolled: 1-line block ×6, first 2 shown]
	v_mov_b32_e32 v96, v99
	v_mov_b32_e32 v97, v123
	ds_read_b128 v[76:79], v173
	ds_read_b128 v[80:83], v173 offset:3456
	ds_read_b128 v[84:87], v173 offset:6912
	;; [unrolled: 1-line block ×3, first 2 shown]
	v_mad_u64_u32 v[99:100], null, s3, v172, v[96:97]
	v_mad_u64_u32 v[48:49], null, s1, v174, v[97:98]
	s_mul_i32 s3, s1, 0x1b00
	s_mulk_i32 s1, 0x8680
	s_add_i32 s3, s6, s3
	s_waitcnt lgkmcnt(8)
	v_mul_f64 v[96:97], v[146:147], v[58:59]
	v_mov_b32_e32 v123, v48
	v_mul_f64 v[92:93], v[150:151], v[54:55]
	v_mul_f64 v[94:95], v[150:151], v[52:53]
	v_lshlrev_b64 v[48:49], 4, v[98:99]
	v_mul_f64 v[98:99], v[146:147], v[56:57]
	s_waitcnt lgkmcnt(7)
	v_mul_f64 v[100:101], v[142:143], v[62:63]
	v_mul_f64 v[102:103], v[142:143], v[60:61]
	s_waitcnt lgkmcnt(6)
	v_mul_f64 v[104:105], v[162:163], v[66:67]
	;; [unrolled: 3-line block ×4, first 2 shown]
	v_mul_f64 v[114:115], v[154:155], v[72:73]
	v_lshlrev_b64 v[50:51], 4, v[122:123]
	v_add_co_u32 v48, vcc_lo, s4, v48
	v_add_co_ci_u32_e32 v49, vcc_lo, s5, v49, vcc_lo
	s_sub_i32 s4, s1, s0
	v_add_co_u32 v48, vcc_lo, v48, v50
	v_fma_f64 v[96:97], v[144:145], v[56:57], v[96:97]
	v_add_co_ci_u32_e32 v49, vcc_lo, v49, v51, vcc_lo
	v_fma_f64 v[92:93], v[148:149], v[52:53], v[92:93]
	v_fma_f64 v[94:95], v[148:149], v[54:55], -v[94:95]
	v_fma_f64 v[98:99], v[144:145], v[58:59], -v[98:99]
	v_fma_f64 v[100:101], v[140:141], v[60:61], v[100:101]
	v_fma_f64 v[102:103], v[140:141], v[62:63], -v[102:103]
	v_fma_f64 v[104:105], v[160:161], v[64:65], v[104:105]
	v_fma_f64 v[106:107], v[160:161], v[66:67], -v[106:107]
	v_fma_f64 v[108:109], v[156:157], v[68:69], v[108:109]
	v_fma_f64 v[110:111], v[156:157], v[70:71], -v[110:111]
	v_fma_f64 v[112:113], v[152:153], v[72:73], v[112:113]
	v_fma_f64 v[114:115], v[152:153], v[74:75], -v[114:115]
	ds_read_b128 v[52:55], v173 offset:13824
	ds_read_b128 v[56:59], v173 offset:17280
	v_add_co_u32 v50, vcc_lo, v48, s2
	v_add_co_ci_u32_e32 v51, vcc_lo, s3, v49, vcc_lo
	v_add_co_u32 v116, vcc_lo, v50, s2
	s_waitcnt lgkmcnt(4)
	v_add_f64 v[64:65], v[80:81], -v[96:97]
	v_add_co_ci_u32_e32 v117, vcc_lo, s3, v51, vcc_lo
	v_add_f64 v[60:61], v[76:77], -v[92:93]
	v_add_f64 v[62:63], v[78:79], -v[94:95]
	;; [unrolled: 1-line block ×3, first 2 shown]
	s_waitcnt lgkmcnt(3)
	v_add_f64 v[68:69], v[84:85], -v[100:101]
	v_add_f64 v[70:71], v[86:87], -v[102:103]
	s_waitcnt lgkmcnt(2)
	v_add_f64 v[72:73], v[88:89], -v[104:105]
	v_add_f64 v[74:75], v[90:91], -v[106:107]
	v_add_co_u32 v118, vcc_lo, v116, s2
	s_waitcnt lgkmcnt(1)
	v_add_f64 v[92:93], v[52:53], -v[108:109]
	v_add_f64 v[94:95], v[54:55], -v[110:111]
	s_waitcnt lgkmcnt(0)
	v_add_f64 v[96:97], v[56:57], -v[112:113]
	v_add_f64 v[98:99], v[58:59], -v[114:115]
	v_add_co_ci_u32_e32 v119, vcc_lo, s3, v117, vcc_lo
	v_add_co_u32 v100, vcc_lo, v118, s2
	v_add_co_ci_u32_e32 v101, vcc_lo, s3, v119, vcc_lo
	v_fma_f64 v[80:81], v[80:81], 2.0, -v[64:65]
	v_add_co_u32 v102, vcc_lo, v100, s2
	v_fma_f64 v[76:77], v[76:77], 2.0, -v[60:61]
	v_fma_f64 v[78:79], v[78:79], 2.0, -v[62:63]
	;; [unrolled: 1-line block ×7, first 2 shown]
	v_add_co_ci_u32_e32 v103, vcc_lo, s3, v101, vcc_lo
	v_fma_f64 v[52:53], v[52:53], 2.0, -v[92:93]
	v_fma_f64 v[54:55], v[54:55], 2.0, -v[94:95]
	;; [unrolled: 1-line block ×4, first 2 shown]
	ds_write_b128 v173, v[60:63] offset:20736
	ds_write_b128 v173, v[64:67] offset:24192
	ds_write_b128 v173, v[68:71] offset:27648
	ds_write_b128 v173, v[72:75] offset:31104
	ds_write_b128 v173, v[92:95] offset:34560
	ds_write_b128 v173, v[96:99] offset:38016
	ds_write_b128 v173, v[76:79]
	ds_write_b128 v173, v[80:83] offset:3456
	ds_write_b128 v173, v[84:87] offset:6912
	;; [unrolled: 1-line block ×5, first 2 shown]
	s_waitcnt lgkmcnt(0)
	s_barrier
	buffer_gl0_inv
	ds_read_b128 v[52:55], v173
	ds_read_b128 v[56:59], v173 offset:6912
	ds_read_b128 v[60:63], v173 offset:13824
	;; [unrolled: 1-line block ×11, first 2 shown]
	v_mad_u64_u32 v[104:105], null, 0xffff8680, s0, v[102:103]
	s_mov_b32 s0, 0xfcd6e9e0
	s_mov_b32 s1, 0x3f3948b0
	v_add_nc_u32_e32 v105, s4, v105
	v_add_co_u32 v106, vcc_lo, v104, s2
	v_add_co_ci_u32_e32 v107, vcc_lo, s3, v105, vcc_lo
	s_waitcnt lgkmcnt(11)
	v_mul_f64 v[110:111], v[2:3], v[54:55]
	v_mul_f64 v[2:3], v[2:3], v[52:53]
	s_waitcnt lgkmcnt(10)
	v_mul_f64 v[112:113], v[6:7], v[58:59]
	v_mul_f64 v[6:7], v[6:7], v[56:57]
	;; [unrolled: 3-line block ×12, first 2 shown]
	v_fma_f64 v[52:53], v[0:1], v[52:53], v[110:111]
	v_fma_f64 v[2:3], v[0:1], v[54:55], -v[2:3]
	v_fma_f64 v[54:55], v[4:5], v[56:57], v[112:113]
	v_fma_f64 v[6:7], v[4:5], v[58:59], -v[6:7]
	;; [unrolled: 2-line block ×12, first 2 shown]
	v_mul_f64 v[0:1], v[52:53], s[0:1]
	v_mul_f64 v[2:3], v[2:3], s[0:1]
	;; [unrolled: 1-line block ×10, first 2 shown]
	v_add_co_u32 v108, vcc_lo, v106, s2
	v_mul_f64 v[20:21], v[62:63], s[0:1]
	v_mul_f64 v[22:23], v[32:33], s[0:1]
	;; [unrolled: 1-line block ×4, first 2 shown]
	v_add_co_ci_u32_e32 v109, vcc_lo, s3, v107, vcc_lo
	v_mul_f64 v[28:29], v[30:31], s[0:1]
	v_mul_f64 v[30:31], v[64:65], s[0:1]
	;; [unrolled: 1-line block ×8, first 2 shown]
	v_add_co_u32 v52, vcc_lo, v108, s2
	v_mul_f64 v[44:45], v[74:75], s[0:1]
	v_mul_f64 v[46:47], v[46:47], s[0:1]
	v_add_co_ci_u32_e32 v53, vcc_lo, s3, v109, vcc_lo
	v_add_co_u32 v54, vcc_lo, v52, s2
	v_add_co_ci_u32_e32 v55, vcc_lo, s3, v53, vcc_lo
	v_add_co_u32 v56, vcc_lo, v54, s2
	v_add_co_ci_u32_e32 v57, vcc_lo, s3, v55, vcc_lo
	global_store_dwordx4 v[48:49], v[0:3], off
	global_store_dwordx4 v[50:51], v[4:7], off
	;; [unrolled: 1-line block ×12, first 2 shown]
.LBB0_2:
	s_endpgm
	.section	.rodata,"a",@progbits
	.p2align	6, 0x0
	.amdhsa_kernel bluestein_single_fwd_len2592_dim1_dp_op_CI_CI
		.amdhsa_group_segment_fixed_size 41472
		.amdhsa_private_segment_fixed_size 0
		.amdhsa_kernarg_size 104
		.amdhsa_user_sgpr_count 6
		.amdhsa_user_sgpr_private_segment_buffer 1
		.amdhsa_user_sgpr_dispatch_ptr 0
		.amdhsa_user_sgpr_queue_ptr 0
		.amdhsa_user_sgpr_kernarg_segment_ptr 1
		.amdhsa_user_sgpr_dispatch_id 0
		.amdhsa_user_sgpr_flat_scratch_init 0
		.amdhsa_user_sgpr_private_segment_size 0
		.amdhsa_wavefront_size32 1
		.amdhsa_uses_dynamic_stack 0
		.amdhsa_system_sgpr_private_segment_wavefront_offset 0
		.amdhsa_system_sgpr_workgroup_id_x 1
		.amdhsa_system_sgpr_workgroup_id_y 0
		.amdhsa_system_sgpr_workgroup_id_z 0
		.amdhsa_system_sgpr_workgroup_info 0
		.amdhsa_system_vgpr_workitem_id 0
		.amdhsa_next_free_vgpr 251
		.amdhsa_next_free_sgpr 20
		.amdhsa_reserve_vcc 1
		.amdhsa_reserve_flat_scratch 0
		.amdhsa_float_round_mode_32 0
		.amdhsa_float_round_mode_16_64 0
		.amdhsa_float_denorm_mode_32 3
		.amdhsa_float_denorm_mode_16_64 3
		.amdhsa_dx10_clamp 1
		.amdhsa_ieee_mode 1
		.amdhsa_fp16_overflow 0
		.amdhsa_workgroup_processor_mode 1
		.amdhsa_memory_ordered 1
		.amdhsa_forward_progress 0
		.amdhsa_shared_vgpr_count 0
		.amdhsa_exception_fp_ieee_invalid_op 0
		.amdhsa_exception_fp_denorm_src 0
		.amdhsa_exception_fp_ieee_div_zero 0
		.amdhsa_exception_fp_ieee_overflow 0
		.amdhsa_exception_fp_ieee_underflow 0
		.amdhsa_exception_fp_ieee_inexact 0
		.amdhsa_exception_int_div_zero 0
	.end_amdhsa_kernel
	.text
.Lfunc_end0:
	.size	bluestein_single_fwd_len2592_dim1_dp_op_CI_CI, .Lfunc_end0-bluestein_single_fwd_len2592_dim1_dp_op_CI_CI
                                        ; -- End function
	.section	.AMDGPU.csdata,"",@progbits
; Kernel info:
; codeLenInByte = 15564
; NumSgprs: 22
; NumVgprs: 251
; ScratchSize: 0
; MemoryBound: 0
; FloatMode: 240
; IeeeMode: 1
; LDSByteSize: 41472 bytes/workgroup (compile time only)
; SGPRBlocks: 2
; VGPRBlocks: 31
; NumSGPRsForWavesPerEU: 22
; NumVGPRsForWavesPerEU: 251
; Occupancy: 4
; WaveLimiterHint : 1
; COMPUTE_PGM_RSRC2:SCRATCH_EN: 0
; COMPUTE_PGM_RSRC2:USER_SGPR: 6
; COMPUTE_PGM_RSRC2:TRAP_HANDLER: 0
; COMPUTE_PGM_RSRC2:TGID_X_EN: 1
; COMPUTE_PGM_RSRC2:TGID_Y_EN: 0
; COMPUTE_PGM_RSRC2:TGID_Z_EN: 0
; COMPUTE_PGM_RSRC2:TIDIG_COMP_CNT: 0
	.text
	.p2alignl 6, 3214868480
	.fill 48, 4, 3214868480
	.type	__hip_cuid_3f595777c9f69350,@object ; @__hip_cuid_3f595777c9f69350
	.section	.bss,"aw",@nobits
	.globl	__hip_cuid_3f595777c9f69350
__hip_cuid_3f595777c9f69350:
	.byte	0                               ; 0x0
	.size	__hip_cuid_3f595777c9f69350, 1

	.ident	"AMD clang version 19.0.0git (https://github.com/RadeonOpenCompute/llvm-project roc-6.4.0 25133 c7fe45cf4b819c5991fe208aaa96edf142730f1d)"
	.section	".note.GNU-stack","",@progbits
	.addrsig
	.addrsig_sym __hip_cuid_3f595777c9f69350
	.amdgpu_metadata
---
amdhsa.kernels:
  - .args:
      - .actual_access:  read_only
        .address_space:  global
        .offset:         0
        .size:           8
        .value_kind:     global_buffer
      - .actual_access:  read_only
        .address_space:  global
        .offset:         8
        .size:           8
        .value_kind:     global_buffer
      - .actual_access:  read_only
        .address_space:  global
        .offset:         16
        .size:           8
        .value_kind:     global_buffer
      - .actual_access:  read_only
        .address_space:  global
        .offset:         24
        .size:           8
        .value_kind:     global_buffer
      - .actual_access:  read_only
        .address_space:  global
        .offset:         32
        .size:           8
        .value_kind:     global_buffer
      - .offset:         40
        .size:           8
        .value_kind:     by_value
      - .address_space:  global
        .offset:         48
        .size:           8
        .value_kind:     global_buffer
      - .address_space:  global
        .offset:         56
        .size:           8
        .value_kind:     global_buffer
      - .address_space:  global
        .offset:         64
        .size:           8
        .value_kind:     global_buffer
      - .address_space:  global
        .offset:         72
        .size:           8
        .value_kind:     global_buffer
      - .offset:         80
        .size:           4
        .value_kind:     by_value
      - .address_space:  global
        .offset:         88
        .size:           8
        .value_kind:     global_buffer
      - .address_space:  global
        .offset:         96
        .size:           8
        .value_kind:     global_buffer
    .group_segment_fixed_size: 41472
    .kernarg_segment_align: 8
    .kernarg_segment_size: 104
    .language:       OpenCL C
    .language_version:
      - 2
      - 0
    .max_flat_workgroup_size: 216
    .name:           bluestein_single_fwd_len2592_dim1_dp_op_CI_CI
    .private_segment_fixed_size: 0
    .sgpr_count:     22
    .sgpr_spill_count: 0
    .symbol:         bluestein_single_fwd_len2592_dim1_dp_op_CI_CI.kd
    .uniform_work_group_size: 1
    .uses_dynamic_stack: false
    .vgpr_count:     251
    .vgpr_spill_count: 0
    .wavefront_size: 32
    .workgroup_processor_mode: 1
amdhsa.target:   amdgcn-amd-amdhsa--gfx1030
amdhsa.version:
  - 1
  - 2
...

	.end_amdgpu_metadata
